;; amdgpu-corpus repo=ROCm/rccl kind=compiled arch=gfx906 opt=O3
	.amdgcn_target "amdgcn-amd-amdhsa--gfx906"
	.amdhsa_code_object_version 6
	.text
	.p2align	2                               ; -- Begin function __ockl_fprintf_append_string_n
	.type	__ockl_fprintf_append_string_n,@function
__ockl_fprintf_append_string_n:         ; @__ockl_fprintf_append_string_n
; %bb.0:
	s_waitcnt vmcnt(0) expcnt(0) lgkmcnt(0)
	v_or_b32_e32 v2, 2, v0
	v_cmp_eq_u32_e32 vcc, 0, v6
	s_getpc_b64 s[4:5]
	s_add_u32 s4, s4, .str.3@rel32@lo+4
	s_addc_u32 s5, s5, .str.3@rel32@hi+12
	s_mov_b32 s20, 0
	v_cndmask_b32_e32 v36, v2, v0, vcc
	s_mov_b64 s[6:7], 0
	s_cmp_lg_u64 s[4:5], 0
	v_mbcnt_lo_u32_b32 v37, -1, 0
	s_cbranch_scc0 .LBB0_112
; %bb.1:
	s_load_dwordx2 s[10:11], s[8:9], 0x50
	s_getpc_b64 s[4:5]
	s_add_u32 s4, s4, .str.3@rel32@lo+4
	s_addc_u32 s5, s5, .str.3@rel32@hi+12
	v_and_b32_e32 v0, -3, v36
	v_mov_b32_e32 v31, s5
	v_mov_b32_e32 v11, v1
	v_and_b32_e32 v38, 2, v36
	v_mov_b32_e32 v3, 0
	v_mbcnt_hi_u32_b32 v39, -1, v37
	v_mov_b32_e32 v30, s4
	s_movk_i32 s21, 0x1e0
	v_mov_b32_e32 v8, 2
	v_mov_b32_e32 v9, 1
	;; [unrolled: 1-line block ×3, first 2 shown]
	s_branch .LBB0_3
.LBB0_2:                                ;   in Loop: Header=BB0_3 Depth=1
	s_or_b64 exec, exec, s[14:15]
	v_sub_co_u32_e32 v4, vcc, v4, v32
	v_subb_co_u32_e32 v5, vcc, v5, v33, vcc
	v_cmp_eq_u64_e32 vcc, 0, v[4:5]
	s_or_b64 s[6:7], vcc, s[6:7]
	v_add_co_u32_e32 v30, vcc, v30, v32
	v_addc_co_u32_e32 v31, vcc, v31, v33, vcc
	s_andn2_b64 exec, exec, s[6:7]
	s_cbranch_execz .LBB0_85
.LBB0_3:                                ; =>This Loop Header: Depth=1
                                        ;     Child Loop BB0_6 Depth 2
                                        ;     Child Loop BB0_14 Depth 2
	;; [unrolled: 1-line block ×11, first 2 shown]
	v_cmp_gt_u64_e32 vcc, 56, v[4:5]
	v_add_co_u32_e64 v16, s[4:5], 8, v30
	v_cndmask_b32_e32 v33, 0, v5, vcc
	v_cndmask_b32_e32 v32, 56, v4, vcc
	v_cmp_gt_u64_e32 vcc, 8, v[4:5]
	v_addc_co_u32_e64 v17, s[4:5], 0, v31, s[4:5]
	s_and_saveexec_b64 s[4:5], vcc
	s_xor_b64 s[4:5], exec, s[4:5]
	s_cbranch_execz .LBB0_9
; %bb.4:                                ;   in Loop: Header=BB0_3 Depth=1
	s_waitcnt vmcnt(0)
	v_mov_b32_e32 v12, 0
	v_cmp_ne_u64_e32 vcc, 0, v[4:5]
	v_mov_b32_e32 v13, 0
	s_and_saveexec_b64 s[12:13], vcc
	s_cbranch_execz .LBB0_8
; %bb.5:                                ;   in Loop: Header=BB0_3 Depth=1
	v_lshlrev_b64 v[6:7], 3, v[32:33]
	v_mov_b32_e32 v12, 0
	v_mov_b32_e32 v14, v30
	s_mov_b64 s[14:15], 0
	v_mov_b32_e32 v13, 0
	v_mov_b32_e32 v15, v31
	s_mov_b64 s[16:17], 0
.LBB0_6:                                ;   Parent Loop BB0_3 Depth=1
                                        ; =>  This Inner Loop Header: Depth=2
	global_load_ubyte v0, v[14:15], off
	v_mov_b32_e32 v17, s20
	v_add_co_u32_e32 v14, vcc, 1, v14
	v_addc_co_u32_e32 v15, vcc, 0, v15, vcc
	s_waitcnt vmcnt(0)
	v_and_b32_e32 v16, 0xffff, v0
	v_lshlrev_b64 v[16:17], s16, v[16:17]
	s_add_u32 s16, s16, 8
	s_addc_u32 s17, s17, 0
	v_cmp_eq_u32_e32 vcc, s16, v6
	v_or_b32_e32 v13, v17, v13
	s_or_b64 s[14:15], vcc, s[14:15]
	v_or_b32_e32 v12, v16, v12
	s_andn2_b64 exec, exec, s[14:15]
	s_cbranch_execnz .LBB0_6
; %bb.7:                                ;   in Loop: Header=BB0_3 Depth=1
	s_or_b64 exec, exec, s[14:15]
.LBB0_8:                                ;   in Loop: Header=BB0_3 Depth=1
	s_or_b64 exec, exec, s[12:13]
	v_mov_b32_e32 v16, v30
	v_mov_b32_e32 v17, v31
.LBB0_9:                                ;   in Loop: Header=BB0_3 Depth=1
	s_or_saveexec_b64 s[4:5], s[4:5]
	v_mov_b32_e32 v0, 0
	s_xor_b64 exec, exec, s[4:5]
	s_cbranch_execz .LBB0_11
; %bb.10:                               ;   in Loop: Header=BB0_3 Depth=1
	global_load_dwordx2 v[12:13], v[30:31], off
	v_add_u32_e32 v0, -8, v32
.LBB0_11:                               ;   in Loop: Header=BB0_3 Depth=1
	s_or_b64 exec, exec, s[4:5]
	v_add_co_u32_e64 v6, s[4:5], 8, v16
	v_cmp_gt_u32_e32 vcc, 8, v0
	v_addc_co_u32_e64 v7, s[4:5], 0, v17, s[4:5]
                                        ; implicit-def: $vgpr14_vgpr15
	s_and_saveexec_b64 s[4:5], vcc
	s_xor_b64 s[4:5], exec, s[4:5]
	s_cbranch_execz .LBB0_17
; %bb.12:                               ;   in Loop: Header=BB0_3 Depth=1
	v_mov_b32_e32 v14, 0
	v_mov_b32_e32 v15, 0
	v_cmp_ne_u32_e32 vcc, 0, v0
	s_and_saveexec_b64 s[12:13], vcc
	s_cbranch_execz .LBB0_16
; %bb.13:                               ;   in Loop: Header=BB0_3 Depth=1
	v_mov_b32_e32 v14, 0
	s_mov_b64 s[14:15], 0
	v_mov_b32_e32 v15, 0
	s_mov_b64 s[16:17], 0
	s_mov_b64 s[18:19], 0
.LBB0_14:                               ;   Parent Loop BB0_3 Depth=1
                                        ; =>  This Inner Loop Header: Depth=2
	v_mov_b32_e32 v2, s19
	v_add_co_u32_e32 v6, vcc, s18, v16
	v_addc_co_u32_e32 v7, vcc, v17, v2, vcc
	global_load_ubyte v2, v[6:7], off
	s_add_u32 s18, s18, 1
	v_mov_b32_e32 v7, s20
	s_addc_u32 s19, s19, 0
	v_cmp_eq_u32_e32 vcc, s18, v0
	s_waitcnt vmcnt(0)
	v_and_b32_e32 v6, 0xffff, v2
	v_lshlrev_b64 v[6:7], s16, v[6:7]
	s_add_u32 s16, s16, 8
	s_addc_u32 s17, s17, 0
	v_or_b32_e32 v15, v7, v15
	s_or_b64 s[14:15], vcc, s[14:15]
	v_or_b32_e32 v14, v6, v14
	s_andn2_b64 exec, exec, s[14:15]
	s_cbranch_execnz .LBB0_14
; %bb.15:                               ;   in Loop: Header=BB0_3 Depth=1
	s_or_b64 exec, exec, s[14:15]
.LBB0_16:                               ;   in Loop: Header=BB0_3 Depth=1
	s_or_b64 exec, exec, s[12:13]
	v_mov_b32_e32 v6, v16
	v_mov_b32_e32 v7, v17
                                        ; implicit-def: $vgpr0
.LBB0_17:                               ;   in Loop: Header=BB0_3 Depth=1
	s_or_saveexec_b64 s[4:5], s[4:5]
	v_mov_b32_e32 v2, 0
	s_xor_b64 exec, exec, s[4:5]
	s_cbranch_execz .LBB0_19
; %bb.18:                               ;   in Loop: Header=BB0_3 Depth=1
	global_load_dwordx2 v[14:15], v[16:17], off
	v_add_u32_e32 v2, -8, v0
.LBB0_19:                               ;   in Loop: Header=BB0_3 Depth=1
	s_or_b64 exec, exec, s[4:5]
	v_add_co_u32_e64 v20, s[4:5], 8, v6
	v_cmp_gt_u32_e32 vcc, 8, v2
	v_addc_co_u32_e64 v21, s[4:5], 0, v7, s[4:5]
	s_and_saveexec_b64 s[4:5], vcc
	s_xor_b64 s[4:5], exec, s[4:5]
	s_cbranch_execz .LBB0_25
; %bb.20:                               ;   in Loop: Header=BB0_3 Depth=1
	v_mov_b32_e32 v16, 0
	v_mov_b32_e32 v17, 0
	v_cmp_ne_u32_e32 vcc, 0, v2
	s_and_saveexec_b64 s[12:13], vcc
	s_cbranch_execz .LBB0_24
; %bb.21:                               ;   in Loop: Header=BB0_3 Depth=1
	v_mov_b32_e32 v16, 0
	s_mov_b64 s[14:15], 0
	v_mov_b32_e32 v17, 0
	s_mov_b64 s[16:17], 0
	s_mov_b64 s[18:19], 0
.LBB0_22:                               ;   Parent Loop BB0_3 Depth=1
                                        ; =>  This Inner Loop Header: Depth=2
	v_mov_b32_e32 v0, s19
	v_add_co_u32_e32 v18, vcc, s18, v6
	v_addc_co_u32_e32 v19, vcc, v7, v0, vcc
	global_load_ubyte v0, v[18:19], off
	s_add_u32 s18, s18, 1
	v_mov_b32_e32 v19, s20
	s_addc_u32 s19, s19, 0
	v_cmp_eq_u32_e32 vcc, s18, v2
	s_waitcnt vmcnt(0)
	v_and_b32_e32 v18, 0xffff, v0
	v_lshlrev_b64 v[18:19], s16, v[18:19]
	s_add_u32 s16, s16, 8
	s_addc_u32 s17, s17, 0
	v_or_b32_e32 v17, v19, v17
	s_or_b64 s[14:15], vcc, s[14:15]
	v_or_b32_e32 v16, v18, v16
	s_andn2_b64 exec, exec, s[14:15]
	s_cbranch_execnz .LBB0_22
; %bb.23:                               ;   in Loop: Header=BB0_3 Depth=1
	s_or_b64 exec, exec, s[14:15]
.LBB0_24:                               ;   in Loop: Header=BB0_3 Depth=1
	s_or_b64 exec, exec, s[12:13]
	v_mov_b32_e32 v21, v7
	v_mov_b32_e32 v20, v6
                                        ; implicit-def: $vgpr2
.LBB0_25:                               ;   in Loop: Header=BB0_3 Depth=1
	s_or_saveexec_b64 s[4:5], s[4:5]
	v_mov_b32_e32 v0, 0
	s_xor_b64 exec, exec, s[4:5]
	s_cbranch_execz .LBB0_27
; %bb.26:                               ;   in Loop: Header=BB0_3 Depth=1
	global_load_dwordx2 v[16:17], v[6:7], off
	v_add_u32_e32 v0, -8, v2
.LBB0_27:                               ;   in Loop: Header=BB0_3 Depth=1
	s_or_b64 exec, exec, s[4:5]
	v_add_co_u32_e64 v6, s[4:5], 8, v20
	v_cmp_gt_u32_e32 vcc, 8, v0
	v_addc_co_u32_e64 v7, s[4:5], 0, v21, s[4:5]
                                        ; implicit-def: $vgpr18_vgpr19
	s_and_saveexec_b64 s[4:5], vcc
	s_xor_b64 s[4:5], exec, s[4:5]
	s_cbranch_execz .LBB0_33
; %bb.28:                               ;   in Loop: Header=BB0_3 Depth=1
	v_mov_b32_e32 v18, 0
	v_mov_b32_e32 v19, 0
	v_cmp_ne_u32_e32 vcc, 0, v0
	s_and_saveexec_b64 s[12:13], vcc
	s_cbranch_execz .LBB0_32
; %bb.29:                               ;   in Loop: Header=BB0_3 Depth=1
	v_mov_b32_e32 v18, 0
	s_mov_b64 s[14:15], 0
	v_mov_b32_e32 v19, 0
	s_mov_b64 s[16:17], 0
	s_mov_b64 s[18:19], 0
.LBB0_30:                               ;   Parent Loop BB0_3 Depth=1
                                        ; =>  This Inner Loop Header: Depth=2
	v_mov_b32_e32 v2, s19
	v_add_co_u32_e32 v6, vcc, s18, v20
	v_addc_co_u32_e32 v7, vcc, v21, v2, vcc
	global_load_ubyte v2, v[6:7], off
	s_add_u32 s18, s18, 1
	v_mov_b32_e32 v7, s20
	s_addc_u32 s19, s19, 0
	v_cmp_eq_u32_e32 vcc, s18, v0
	s_waitcnt vmcnt(0)
	v_and_b32_e32 v6, 0xffff, v2
	v_lshlrev_b64 v[6:7], s16, v[6:7]
	s_add_u32 s16, s16, 8
	s_addc_u32 s17, s17, 0
	v_or_b32_e32 v19, v7, v19
	s_or_b64 s[14:15], vcc, s[14:15]
	v_or_b32_e32 v18, v6, v18
	s_andn2_b64 exec, exec, s[14:15]
	s_cbranch_execnz .LBB0_30
; %bb.31:                               ;   in Loop: Header=BB0_3 Depth=1
	s_or_b64 exec, exec, s[14:15]
.LBB0_32:                               ;   in Loop: Header=BB0_3 Depth=1
	s_or_b64 exec, exec, s[12:13]
	v_mov_b32_e32 v6, v20
	v_mov_b32_e32 v7, v21
                                        ; implicit-def: $vgpr0
.LBB0_33:                               ;   in Loop: Header=BB0_3 Depth=1
	s_or_saveexec_b64 s[4:5], s[4:5]
	v_mov_b32_e32 v2, 0
	s_xor_b64 exec, exec, s[4:5]
	s_cbranch_execz .LBB0_35
; %bb.34:                               ;   in Loop: Header=BB0_3 Depth=1
	global_load_dwordx2 v[18:19], v[20:21], off
	v_add_u32_e32 v2, -8, v0
.LBB0_35:                               ;   in Loop: Header=BB0_3 Depth=1
	s_or_b64 exec, exec, s[4:5]
	v_add_co_u32_e64 v24, s[4:5], 8, v6
	v_cmp_gt_u32_e32 vcc, 8, v2
	v_addc_co_u32_e64 v25, s[4:5], 0, v7, s[4:5]
	s_and_saveexec_b64 s[4:5], vcc
	s_xor_b64 s[4:5], exec, s[4:5]
	s_cbranch_execz .LBB0_41
; %bb.36:                               ;   in Loop: Header=BB0_3 Depth=1
	v_mov_b32_e32 v20, 0
	v_mov_b32_e32 v21, 0
	v_cmp_ne_u32_e32 vcc, 0, v2
	s_and_saveexec_b64 s[12:13], vcc
	s_cbranch_execz .LBB0_40
; %bb.37:                               ;   in Loop: Header=BB0_3 Depth=1
	v_mov_b32_e32 v20, 0
	s_mov_b64 s[14:15], 0
	v_mov_b32_e32 v21, 0
	s_mov_b64 s[16:17], 0
	s_mov_b64 s[18:19], 0
.LBB0_38:                               ;   Parent Loop BB0_3 Depth=1
                                        ; =>  This Inner Loop Header: Depth=2
	v_mov_b32_e32 v0, s19
	v_add_co_u32_e32 v22, vcc, s18, v6
	v_addc_co_u32_e32 v23, vcc, v7, v0, vcc
	global_load_ubyte v0, v[22:23], off
	s_add_u32 s18, s18, 1
	v_mov_b32_e32 v23, s20
	s_addc_u32 s19, s19, 0
	v_cmp_eq_u32_e32 vcc, s18, v2
	s_waitcnt vmcnt(0)
	v_and_b32_e32 v22, 0xffff, v0
	v_lshlrev_b64 v[22:23], s16, v[22:23]
	s_add_u32 s16, s16, 8
	s_addc_u32 s17, s17, 0
	v_or_b32_e32 v21, v23, v21
	s_or_b64 s[14:15], vcc, s[14:15]
	v_or_b32_e32 v20, v22, v20
	s_andn2_b64 exec, exec, s[14:15]
	s_cbranch_execnz .LBB0_38
; %bb.39:                               ;   in Loop: Header=BB0_3 Depth=1
	s_or_b64 exec, exec, s[14:15]
.LBB0_40:                               ;   in Loop: Header=BB0_3 Depth=1
	s_or_b64 exec, exec, s[12:13]
	v_mov_b32_e32 v25, v7
	v_mov_b32_e32 v24, v6
                                        ; implicit-def: $vgpr2
.LBB0_41:                               ;   in Loop: Header=BB0_3 Depth=1
	s_or_saveexec_b64 s[4:5], s[4:5]
	v_mov_b32_e32 v0, 0
	s_xor_b64 exec, exec, s[4:5]
	s_cbranch_execz .LBB0_43
; %bb.42:                               ;   in Loop: Header=BB0_3 Depth=1
	global_load_dwordx2 v[20:21], v[6:7], off
	v_add_u32_e32 v0, -8, v2
.LBB0_43:                               ;   in Loop: Header=BB0_3 Depth=1
	s_or_b64 exec, exec, s[4:5]
	v_add_co_u32_e64 v6, s[4:5], 8, v24
	v_cmp_gt_u32_e32 vcc, 8, v0
	v_addc_co_u32_e64 v7, s[4:5], 0, v25, s[4:5]
                                        ; implicit-def: $vgpr22_vgpr23
	s_and_saveexec_b64 s[4:5], vcc
	s_xor_b64 s[4:5], exec, s[4:5]
	s_cbranch_execz .LBB0_49
; %bb.44:                               ;   in Loop: Header=BB0_3 Depth=1
	v_mov_b32_e32 v22, 0
	v_mov_b32_e32 v23, 0
	v_cmp_ne_u32_e32 vcc, 0, v0
	s_and_saveexec_b64 s[12:13], vcc
	s_cbranch_execz .LBB0_48
; %bb.45:                               ;   in Loop: Header=BB0_3 Depth=1
	v_mov_b32_e32 v22, 0
	s_mov_b64 s[14:15], 0
	v_mov_b32_e32 v23, 0
	s_mov_b64 s[16:17], 0
	s_mov_b64 s[18:19], 0
.LBB0_46:                               ;   Parent Loop BB0_3 Depth=1
                                        ; =>  This Inner Loop Header: Depth=2
	v_mov_b32_e32 v2, s19
	v_add_co_u32_e32 v6, vcc, s18, v24
	v_addc_co_u32_e32 v7, vcc, v25, v2, vcc
	global_load_ubyte v2, v[6:7], off
	s_add_u32 s18, s18, 1
	v_mov_b32_e32 v7, s20
	s_addc_u32 s19, s19, 0
	v_cmp_eq_u32_e32 vcc, s18, v0
	s_waitcnt vmcnt(0)
	v_and_b32_e32 v6, 0xffff, v2
	v_lshlrev_b64 v[6:7], s16, v[6:7]
	s_add_u32 s16, s16, 8
	s_addc_u32 s17, s17, 0
	v_or_b32_e32 v23, v7, v23
	s_or_b64 s[14:15], vcc, s[14:15]
	v_or_b32_e32 v22, v6, v22
	s_andn2_b64 exec, exec, s[14:15]
	s_cbranch_execnz .LBB0_46
; %bb.47:                               ;   in Loop: Header=BB0_3 Depth=1
	s_or_b64 exec, exec, s[14:15]
.LBB0_48:                               ;   in Loop: Header=BB0_3 Depth=1
	s_or_b64 exec, exec, s[12:13]
	v_mov_b32_e32 v6, v24
	v_mov_b32_e32 v7, v25
                                        ; implicit-def: $vgpr0
.LBB0_49:                               ;   in Loop: Header=BB0_3 Depth=1
	s_or_saveexec_b64 s[4:5], s[4:5]
	v_mov_b32_e32 v2, 0
	s_xor_b64 exec, exec, s[4:5]
	s_cbranch_execz .LBB0_51
; %bb.50:                               ;   in Loop: Header=BB0_3 Depth=1
	global_load_dwordx2 v[22:23], v[24:25], off
	v_add_u32_e32 v2, -8, v0
.LBB0_51:                               ;   in Loop: Header=BB0_3 Depth=1
	s_or_b64 exec, exec, s[4:5]
	v_cmp_gt_u32_e32 vcc, 8, v2
	s_and_saveexec_b64 s[4:5], vcc
	s_xor_b64 s[4:5], exec, s[4:5]
	s_cbranch_execz .LBB0_57
; %bb.52:                               ;   in Loop: Header=BB0_3 Depth=1
	v_mov_b32_e32 v24, 0
	v_mov_b32_e32 v25, 0
	v_cmp_ne_u32_e32 vcc, 0, v2
	s_and_saveexec_b64 s[12:13], vcc
	s_cbranch_execz .LBB0_56
; %bb.53:                               ;   in Loop: Header=BB0_3 Depth=1
	v_mov_b32_e32 v24, 0
	s_mov_b64 s[14:15], 0
	v_mov_b32_e32 v25, 0
	s_mov_b64 s[16:17], 0
.LBB0_54:                               ;   Parent Loop BB0_3 Depth=1
                                        ; =>  This Inner Loop Header: Depth=2
	global_load_ubyte v0, v[6:7], off
	v_mov_b32_e32 v27, s20
	v_add_co_u32_e32 v6, vcc, 1, v6
	v_add_u32_e32 v2, -1, v2
	v_addc_co_u32_e32 v7, vcc, 0, v7, vcc
	v_cmp_eq_u32_e32 vcc, 0, v2
	s_waitcnt vmcnt(0)
	v_and_b32_e32 v26, 0xffff, v0
	v_lshlrev_b64 v[26:27], s16, v[26:27]
	s_add_u32 s16, s16, 8
	s_addc_u32 s17, s17, 0
	v_or_b32_e32 v25, v27, v25
	s_or_b64 s[14:15], vcc, s[14:15]
	v_or_b32_e32 v24, v26, v24
	s_andn2_b64 exec, exec, s[14:15]
	s_cbranch_execnz .LBB0_54
; %bb.55:                               ;   in Loop: Header=BB0_3 Depth=1
	s_or_b64 exec, exec, s[14:15]
.LBB0_56:                               ;   in Loop: Header=BB0_3 Depth=1
	s_or_b64 exec, exec, s[12:13]
                                        ; implicit-def: $vgpr6_vgpr7
.LBB0_57:                               ;   in Loop: Header=BB0_3 Depth=1
	s_andn2_saveexec_b64 s[4:5], s[4:5]
	s_cbranch_execz .LBB0_59
; %bb.58:                               ;   in Loop: Header=BB0_3 Depth=1
	global_load_dwordx2 v[24:25], v[6:7], off
.LBB0_59:                               ;   in Loop: Header=BB0_3 Depth=1
	s_or_b64 exec, exec, s[4:5]
	v_readfirstlane_b32 s4, v39
	v_mov_b32_e32 v6, 0
	v_mov_b32_e32 v7, 0
	v_cmp_eq_u32_e64 s[4:5], s4, v39
	s_and_saveexec_b64 s[12:13], s[4:5]
	s_cbranch_execz .LBB0_65
; %bb.60:                               ;   in Loop: Header=BB0_3 Depth=1
	s_waitcnt lgkmcnt(0)
	global_load_dwordx2 v[28:29], v3, s[10:11] offset:24 glc
	s_waitcnt vmcnt(0)
	buffer_wbinvl1_vol
	global_load_dwordx2 v[6:7], v3, s[10:11] offset:40
	global_load_dwordx2 v[26:27], v3, s[10:11]
	s_waitcnt vmcnt(1)
	v_and_b32_e32 v0, v6, v28
	v_and_b32_e32 v2, v7, v29
	v_mul_lo_u32 v2, v2, 24
	v_mul_hi_u32 v6, v0, 24
	v_mul_lo_u32 v0, v0, 24
	v_add_u32_e32 v2, v6, v2
	s_waitcnt vmcnt(0)
	v_add_co_u32_e32 v6, vcc, v26, v0
	v_addc_co_u32_e32 v7, vcc, v27, v2, vcc
	global_load_dwordx2 v[26:27], v[6:7], off glc
	s_waitcnt vmcnt(0)
	global_atomic_cmpswap_x2 v[6:7], v3, v[26:29], s[10:11] offset:24 glc
	s_waitcnt vmcnt(0)
	buffer_wbinvl1_vol
	v_cmp_ne_u64_e32 vcc, v[6:7], v[28:29]
	s_and_saveexec_b64 s[14:15], vcc
	s_cbranch_execz .LBB0_64
; %bb.61:                               ;   in Loop: Header=BB0_3 Depth=1
	s_mov_b64 s[16:17], 0
.LBB0_62:                               ;   Parent Loop BB0_3 Depth=1
                                        ; =>  This Inner Loop Header: Depth=2
	s_sleep 1
	global_load_dwordx2 v[26:27], v3, s[10:11] offset:40
	global_load_dwordx2 v[34:35], v3, s[10:11]
	v_mov_b32_e32 v29, v7
	v_mov_b32_e32 v28, v6
	s_waitcnt vmcnt(1)
	v_and_b32_e32 v0, v26, v28
	s_waitcnt vmcnt(0)
	v_mad_u64_u32 v[6:7], s[18:19], v0, 24, v[34:35]
	v_and_b32_e32 v2, v27, v29
	v_mov_b32_e32 v0, v7
	v_mad_u64_u32 v[26:27], s[18:19], v2, 24, v[0:1]
	v_mov_b32_e32 v7, v26
	global_load_dwordx2 v[26:27], v[6:7], off glc
	s_waitcnt vmcnt(0)
	global_atomic_cmpswap_x2 v[6:7], v3, v[26:29], s[10:11] offset:24 glc
	s_waitcnt vmcnt(0)
	buffer_wbinvl1_vol
	v_cmp_eq_u64_e32 vcc, v[6:7], v[28:29]
	s_or_b64 s[16:17], vcc, s[16:17]
	s_andn2_b64 exec, exec, s[16:17]
	s_cbranch_execnz .LBB0_62
; %bb.63:                               ;   in Loop: Header=BB0_3 Depth=1
	s_or_b64 exec, exec, s[16:17]
.LBB0_64:                               ;   in Loop: Header=BB0_3 Depth=1
	s_or_b64 exec, exec, s[14:15]
.LBB0_65:                               ;   in Loop: Header=BB0_3 Depth=1
	s_or_b64 exec, exec, s[12:13]
	s_waitcnt lgkmcnt(0)
	global_load_dwordx2 v[34:35], v3, s[10:11] offset:40
	global_load_dwordx4 v[26:29], v3, s[10:11]
	v_readfirstlane_b32 s13, v7
	v_readfirstlane_b32 s12, v6
	s_mov_b64 s[14:15], exec
	s_waitcnt vmcnt(1)
	v_readfirstlane_b32 s16, v34
	v_readfirstlane_b32 s17, v35
	s_and_b64 s[16:17], s[16:17], s[12:13]
	s_mul_i32 s18, s17, 24
	s_mul_hi_u32 s19, s16, 24
	s_mul_i32 s22, s16, 24
	s_add_i32 s18, s19, s18
	v_mov_b32_e32 v0, s18
	s_waitcnt vmcnt(0)
	v_add_co_u32_e32 v34, vcc, s22, v26
	v_addc_co_u32_e32 v35, vcc, v27, v0, vcc
	s_and_saveexec_b64 s[18:19], s[4:5]
	s_cbranch_execz .LBB0_67
; %bb.66:                               ;   in Loop: Header=BB0_3 Depth=1
	v_mov_b32_e32 v6, s14
	v_mov_b32_e32 v7, s15
	global_store_dwordx4 v[34:35], v[6:9], off offset:8
.LBB0_67:                               ;   in Loop: Header=BB0_3 Depth=1
	s_or_b64 exec, exec, s[18:19]
	s_lshl_b64 s[14:15], s[16:17], 12
	v_mov_b32_e32 v2, s15
	v_add_co_u32_e32 v0, vcc, s14, v28
	v_addc_co_u32_e32 v28, vcc, v29, v2, vcc
	v_cmp_gt_u64_e32 vcc, 57, v[4:5]
	v_and_b32_e32 v7, 0xffffff1f, v10
	v_cndmask_b32_e32 v2, 0, v38, vcc
	v_lshl_add_u32 v6, v32, 2, 28
	v_or_b32_e32 v2, v7, v2
	v_and_or_b32 v10, v6, s21, v2
	v_lshlrev_b32_e32 v29, 6, v39
	v_readfirstlane_b32 s14, v0
	v_readfirstlane_b32 s15, v28
	s_nop 4
	global_store_dwordx4 v29, v[10:13], s[14:15]
	global_store_dwordx4 v29, v[14:17], s[14:15] offset:16
	global_store_dwordx4 v29, v[18:21], s[14:15] offset:32
	;; [unrolled: 1-line block ×3, first 2 shown]
	s_and_saveexec_b64 s[14:15], s[4:5]
	s_cbranch_execz .LBB0_75
; %bb.68:                               ;   in Loop: Header=BB0_3 Depth=1
	global_load_dwordx2 v[14:15], v3, s[10:11] offset:32 glc
	global_load_dwordx2 v[6:7], v3, s[10:11] offset:40
	v_mov_b32_e32 v12, s12
	v_mov_b32_e32 v13, s13
	s_waitcnt vmcnt(0)
	v_readfirstlane_b32 s16, v6
	v_readfirstlane_b32 s17, v7
	s_and_b64 s[16:17], s[16:17], s[12:13]
	s_mul_i32 s17, s17, 24
	s_mul_hi_u32 s18, s16, 24
	s_mul_i32 s16, s16, 24
	s_add_i32 s17, s18, s17
	v_mov_b32_e32 v2, s17
	v_add_co_u32_e32 v6, vcc, s16, v26
	v_addc_co_u32_e32 v7, vcc, v27, v2, vcc
	global_store_dwordx2 v[6:7], v[14:15], off
	s_waitcnt vmcnt(0)
	global_atomic_cmpswap_x2 v[12:13], v3, v[12:15], s[10:11] offset:32 glc
	s_waitcnt vmcnt(0)
	v_cmp_ne_u64_e32 vcc, v[12:13], v[14:15]
	s_and_saveexec_b64 s[16:17], vcc
	s_cbranch_execz .LBB0_71
; %bb.69:                               ;   in Loop: Header=BB0_3 Depth=1
	s_mov_b64 s[18:19], 0
.LBB0_70:                               ;   Parent Loop BB0_3 Depth=1
                                        ; =>  This Inner Loop Header: Depth=2
	s_sleep 1
	global_store_dwordx2 v[6:7], v[12:13], off
	v_mov_b32_e32 v10, s12
	v_mov_b32_e32 v11, s13
	s_waitcnt vmcnt(0)
	global_atomic_cmpswap_x2 v[10:11], v3, v[10:13], s[10:11] offset:32 glc
	s_waitcnt vmcnt(0)
	v_cmp_eq_u64_e32 vcc, v[10:11], v[12:13]
	v_mov_b32_e32 v13, v11
	s_or_b64 s[18:19], vcc, s[18:19]
	v_mov_b32_e32 v12, v10
	s_andn2_b64 exec, exec, s[18:19]
	s_cbranch_execnz .LBB0_70
.LBB0_71:                               ;   in Loop: Header=BB0_3 Depth=1
	s_or_b64 exec, exec, s[16:17]
	global_load_dwordx2 v[6:7], v3, s[10:11] offset:16
	s_mov_b64 s[18:19], exec
	v_mbcnt_lo_u32_b32 v2, s18, 0
	v_mbcnt_hi_u32_b32 v2, s19, v2
	v_cmp_eq_u32_e32 vcc, 0, v2
	s_and_saveexec_b64 s[16:17], vcc
	s_cbranch_execz .LBB0_73
; %bb.72:                               ;   in Loop: Header=BB0_3 Depth=1
	s_bcnt1_i32_b64 s18, s[18:19]
	v_mov_b32_e32 v2, s18
	s_waitcnt vmcnt(0)
	global_atomic_add_x2 v[6:7], v[2:3], off offset:8
.LBB0_73:                               ;   in Loop: Header=BB0_3 Depth=1
	s_or_b64 exec, exec, s[16:17]
	s_waitcnt vmcnt(0)
	global_load_dwordx2 v[10:11], v[6:7], off offset:16
	s_waitcnt vmcnt(0)
	v_cmp_eq_u64_e32 vcc, 0, v[10:11]
	s_cbranch_vccnz .LBB0_75
; %bb.74:                               ;   in Loop: Header=BB0_3 Depth=1
	global_load_dword v2, v[6:7], off offset:24
	s_waitcnt vmcnt(0)
	v_readfirstlane_b32 s16, v2
	s_and_b32 m0, s16, 0xffffff
	global_store_dwordx2 v[10:11], v[2:3], off
	s_sendmsg sendmsg(MSG_INTERRUPT)
.LBB0_75:                               ;   in Loop: Header=BB0_3 Depth=1
	s_or_b64 exec, exec, s[14:15]
	v_add_co_u32_e32 v6, vcc, v0, v29
	v_addc_co_u32_e32 v7, vcc, 0, v28, vcc
	s_branch .LBB0_79
.LBB0_76:                               ;   in Loop: Header=BB0_79 Depth=2
	s_or_b64 exec, exec, s[14:15]
	v_readfirstlane_b32 s14, v0
	s_cmp_eq_u32 s14, 0
	s_cbranch_scc1 .LBB0_78
; %bb.77:                               ;   in Loop: Header=BB0_79 Depth=2
	s_sleep 1
	s_cbranch_execnz .LBB0_79
	s_branch .LBB0_81
.LBB0_78:                               ;   in Loop: Header=BB0_3 Depth=1
	s_branch .LBB0_81
.LBB0_79:                               ;   Parent Loop BB0_3 Depth=1
                                        ; =>  This Inner Loop Header: Depth=2
	v_mov_b32_e32 v0, 1
	s_and_saveexec_b64 s[14:15], s[4:5]
	s_cbranch_execz .LBB0_76
; %bb.80:                               ;   in Loop: Header=BB0_79 Depth=2
	global_load_dword v0, v[34:35], off offset:20 glc
	s_waitcnt vmcnt(0)
	buffer_wbinvl1_vol
	v_and_b32_e32 v0, 1, v0
	s_branch .LBB0_76
.LBB0_81:                               ;   in Loop: Header=BB0_3 Depth=1
	global_load_dwordx4 v[10:13], v[6:7], off
	s_and_saveexec_b64 s[14:15], s[4:5]
	s_cbranch_execz .LBB0_2
; %bb.82:                               ;   in Loop: Header=BB0_3 Depth=1
	global_load_dwordx2 v[6:7], v3, s[10:11] offset:40
	global_load_dwordx2 v[16:17], v3, s[10:11] offset:24 glc
	global_load_dwordx2 v[12:13], v3, s[10:11]
	s_waitcnt vmcnt(2)
	v_readfirstlane_b32 s16, v6
	v_readfirstlane_b32 s17, v7
	s_add_u32 s18, s16, 1
	s_addc_u32 s19, s17, 0
	s_add_u32 s4, s18, s12
	s_addc_u32 s5, s19, s13
	s_cmp_eq_u64 s[4:5], 0
	s_cselect_b32 s5, s19, s5
	s_cselect_b32 s4, s18, s4
	s_and_b64 s[12:13], s[4:5], s[16:17]
	s_mul_i32 s13, s13, 24
	s_mul_hi_u32 s16, s12, 24
	s_mul_i32 s12, s12, 24
	s_add_i32 s13, s16, s13
	v_mov_b32_e32 v0, s13
	s_waitcnt vmcnt(0)
	v_add_co_u32_e32 v6, vcc, s12, v12
	v_addc_co_u32_e32 v7, vcc, v13, v0, vcc
	v_mov_b32_e32 v14, s4
	global_store_dwordx2 v[6:7], v[16:17], off
	v_mov_b32_e32 v15, s5
	s_waitcnt vmcnt(0)
	global_atomic_cmpswap_x2 v[14:15], v3, v[14:17], s[10:11] offset:24 glc
	s_waitcnt vmcnt(0)
	v_cmp_ne_u64_e32 vcc, v[14:15], v[16:17]
	s_and_b64 exec, exec, vcc
	s_cbranch_execz .LBB0_2
; %bb.83:                               ;   in Loop: Header=BB0_3 Depth=1
	s_mov_b64 s[12:13], 0
.LBB0_84:                               ;   Parent Loop BB0_3 Depth=1
                                        ; =>  This Inner Loop Header: Depth=2
	s_sleep 1
	global_store_dwordx2 v[6:7], v[14:15], off
	v_mov_b32_e32 v12, s4
	v_mov_b32_e32 v13, s5
	s_waitcnt vmcnt(0)
	global_atomic_cmpswap_x2 v[12:13], v3, v[12:15], s[10:11] offset:24 glc
	s_waitcnt vmcnt(0)
	v_cmp_eq_u64_e32 vcc, v[12:13], v[14:15]
	v_mov_b32_e32 v15, v13
	s_or_b64 s[12:13], vcc, s[12:13]
	v_mov_b32_e32 v14, v12
	s_andn2_b64 exec, exec, s[12:13]
	s_cbranch_execnz .LBB0_84
	s_branch .LBB0_2
.LBB0_85:
	s_or_b64 exec, exec, s[6:7]
	s_branch .LBB0_113
.LBB0_86:
	s_load_dwordx2 s[6:7], s[8:9], 0x50
	v_mbcnt_hi_u32_b32 v3, -1, v37
	v_readfirstlane_b32 s4, v3
	v_mov_b32_e32 v8, 0
	v_mov_b32_e32 v9, 0
	v_cmp_eq_u32_e64 s[4:5], s4, v3
	s_and_saveexec_b64 s[8:9], s[4:5]
	s_cbranch_execz .LBB0_92
; %bb.87:
	v_mov_b32_e32 v0, 0
	s_waitcnt lgkmcnt(0)
	global_load_dwordx2 v[6:7], v0, s[6:7] offset:24 glc
	s_waitcnt vmcnt(0)
	buffer_wbinvl1_vol
	global_load_dwordx2 v[4:5], v0, s[6:7] offset:40
	global_load_dwordx2 v[8:9], v0, s[6:7]
	s_waitcnt vmcnt(1)
	v_and_b32_e32 v2, v4, v6
	v_and_b32_e32 v4, v5, v7
	v_mul_lo_u32 v4, v4, 24
	v_mul_hi_u32 v5, v2, 24
	v_mul_lo_u32 v2, v2, 24
	v_add_u32_e32 v5, v5, v4
	s_waitcnt vmcnt(0)
	v_add_co_u32_e32 v4, vcc, v8, v2
	v_addc_co_u32_e32 v5, vcc, v9, v5, vcc
	global_load_dwordx2 v[4:5], v[4:5], off glc
	s_waitcnt vmcnt(0)
	global_atomic_cmpswap_x2 v[8:9], v0, v[4:7], s[6:7] offset:24 glc
	s_waitcnt vmcnt(0)
	buffer_wbinvl1_vol
	v_cmp_ne_u64_e32 vcc, v[8:9], v[6:7]
	s_and_saveexec_b64 s[10:11], vcc
	s_cbranch_execz .LBB0_91
; %bb.88:
	s_mov_b64 s[12:13], 0
.LBB0_89:                               ; =>This Inner Loop Header: Depth=1
	s_sleep 1
	global_load_dwordx2 v[4:5], v0, s[6:7] offset:40
	global_load_dwordx2 v[10:11], v0, s[6:7]
	v_mov_b32_e32 v6, v8
	v_mov_b32_e32 v7, v9
	s_waitcnt vmcnt(1)
	v_and_b32_e32 v2, v4, v6
	s_waitcnt vmcnt(0)
	v_mad_u64_u32 v[8:9], s[14:15], v2, 24, v[10:11]
	v_and_b32_e32 v4, v5, v7
	v_mov_b32_e32 v2, v9
	v_mad_u64_u32 v[4:5], s[14:15], v4, 24, v[2:3]
	v_mov_b32_e32 v9, v4
	global_load_dwordx2 v[4:5], v[8:9], off glc
	s_waitcnt vmcnt(0)
	global_atomic_cmpswap_x2 v[8:9], v0, v[4:7], s[6:7] offset:24 glc
	s_waitcnt vmcnt(0)
	buffer_wbinvl1_vol
	v_cmp_eq_u64_e32 vcc, v[8:9], v[6:7]
	s_or_b64 s[12:13], vcc, s[12:13]
	s_andn2_b64 exec, exec, s[12:13]
	s_cbranch_execnz .LBB0_89
; %bb.90:
	s_or_b64 exec, exec, s[12:13]
.LBB0_91:
	s_or_b64 exec, exec, s[10:11]
.LBB0_92:
	s_or_b64 exec, exec, s[8:9]
	v_mov_b32_e32 v2, 0
	s_waitcnt lgkmcnt(0)
	global_load_dwordx2 v[10:11], v2, s[6:7] offset:40
	global_load_dwordx4 v[4:7], v2, s[6:7]
	v_readfirstlane_b32 s9, v9
	v_readfirstlane_b32 s8, v8
	s_mov_b64 s[10:11], exec
	s_waitcnt vmcnt(1)
	v_readfirstlane_b32 s12, v10
	v_readfirstlane_b32 s13, v11
	s_and_b64 s[12:13], s[12:13], s[8:9]
	s_mul_i32 s14, s13, 24
	s_mul_hi_u32 s15, s12, 24
	s_mul_i32 s16, s12, 24
	s_add_i32 s14, s15, s14
	v_mov_b32_e32 v0, s14
	s_waitcnt vmcnt(0)
	v_add_co_u32_e32 v8, vcc, s16, v4
	v_addc_co_u32_e32 v9, vcc, v5, v0, vcc
	s_and_saveexec_b64 s[14:15], s[4:5]
	s_cbranch_execz .LBB0_94
; %bb.93:
	v_mov_b32_e32 v10, s10
	v_mov_b32_e32 v11, s11
	;; [unrolled: 1-line block ×4, first 2 shown]
	global_store_dwordx4 v[8:9], v[10:13], off offset:8
.LBB0_94:
	s_or_b64 exec, exec, s[14:15]
	s_lshl_b64 s[10:11], s[12:13], 12
	v_mov_b32_e32 v0, s11
	v_add_co_u32_e32 v6, vcc, s10, v6
	v_addc_co_u32_e32 v7, vcc, v7, v0, vcc
	s_movk_i32 s10, 0xff1f
	v_and_or_b32 v0, v36, s10, 32
	v_lshlrev_b32_e32 v10, 6, v3
	s_mov_b32 s12, 0
	v_mov_b32_e32 v3, v2
	v_readfirstlane_b32 s10, v6
	v_readfirstlane_b32 s11, v7
	s_mov_b32 s13, s12
	s_mov_b32 s14, s12
	;; [unrolled: 1-line block ×3, first 2 shown]
	s_nop 1
	global_store_dwordx4 v10, v[0:3], s[10:11]
	s_nop 0
	v_mov_b32_e32 v0, s12
	v_mov_b32_e32 v1, s13
	;; [unrolled: 1-line block ×4, first 2 shown]
	global_store_dwordx4 v10, v[0:3], s[10:11] offset:16
	global_store_dwordx4 v10, v[0:3], s[10:11] offset:32
	;; [unrolled: 1-line block ×3, first 2 shown]
	s_and_saveexec_b64 s[10:11], s[4:5]
	s_cbranch_execz .LBB0_102
; %bb.95:
	v_mov_b32_e32 v6, 0
	global_load_dwordx2 v[12:13], v6, s[6:7] offset:32 glc
	global_load_dwordx2 v[0:1], v6, s[6:7] offset:40
	v_mov_b32_e32 v10, s8
	v_mov_b32_e32 v11, s9
	s_waitcnt vmcnt(0)
	v_and_b32_e32 v0, s8, v0
	v_and_b32_e32 v1, s9, v1
	v_mul_lo_u32 v1, v1, 24
	v_mul_hi_u32 v2, v0, 24
	v_mul_lo_u32 v0, v0, 24
	v_add_u32_e32 v1, v2, v1
	v_add_co_u32_e32 v4, vcc, v4, v0
	v_addc_co_u32_e32 v5, vcc, v5, v1, vcc
	global_store_dwordx2 v[4:5], v[12:13], off
	s_waitcnt vmcnt(0)
	global_atomic_cmpswap_x2 v[2:3], v6, v[10:13], s[6:7] offset:32 glc
	s_waitcnt vmcnt(0)
	v_cmp_ne_u64_e32 vcc, v[2:3], v[12:13]
	s_and_saveexec_b64 s[12:13], vcc
	s_cbranch_execz .LBB0_98
; %bb.96:
	s_mov_b64 s[14:15], 0
.LBB0_97:                               ; =>This Inner Loop Header: Depth=1
	s_sleep 1
	global_store_dwordx2 v[4:5], v[2:3], off
	v_mov_b32_e32 v0, s8
	v_mov_b32_e32 v1, s9
	s_waitcnt vmcnt(0)
	global_atomic_cmpswap_x2 v[0:1], v6, v[0:3], s[6:7] offset:32 glc
	s_waitcnt vmcnt(0)
	v_cmp_eq_u64_e32 vcc, v[0:1], v[2:3]
	v_mov_b32_e32 v3, v1
	s_or_b64 s[14:15], vcc, s[14:15]
	v_mov_b32_e32 v2, v0
	s_andn2_b64 exec, exec, s[14:15]
	s_cbranch_execnz .LBB0_97
.LBB0_98:
	s_or_b64 exec, exec, s[12:13]
	v_mov_b32_e32 v3, 0
	global_load_dwordx2 v[0:1], v3, s[6:7] offset:16
	s_mov_b64 s[12:13], exec
	v_mbcnt_lo_u32_b32 v2, s12, 0
	v_mbcnt_hi_u32_b32 v2, s13, v2
	v_cmp_eq_u32_e32 vcc, 0, v2
	s_and_saveexec_b64 s[14:15], vcc
	s_cbranch_execz .LBB0_100
; %bb.99:
	s_bcnt1_i32_b64 s12, s[12:13]
	v_mov_b32_e32 v2, s12
	s_waitcnt vmcnt(0)
	global_atomic_add_x2 v[0:1], v[2:3], off offset:8
.LBB0_100:
	s_or_b64 exec, exec, s[14:15]
	s_waitcnt vmcnt(0)
	global_load_dwordx2 v[2:3], v[0:1], off offset:16
	s_waitcnt vmcnt(0)
	v_cmp_eq_u64_e32 vcc, 0, v[2:3]
	s_cbranch_vccnz .LBB0_102
; %bb.101:
	global_load_dword v0, v[0:1], off offset:24
	v_mov_b32_e32 v1, 0
	s_waitcnt vmcnt(0)
	v_readfirstlane_b32 s12, v0
	s_and_b32 m0, s12, 0xffffff
	global_store_dwordx2 v[2:3], v[0:1], off
	s_sendmsg sendmsg(MSG_INTERRUPT)
.LBB0_102:
	s_or_b64 exec, exec, s[10:11]
	s_branch .LBB0_106
.LBB0_103:                              ;   in Loop: Header=BB0_106 Depth=1
	s_or_b64 exec, exec, s[10:11]
	v_readfirstlane_b32 s10, v0
	s_cmp_eq_u32 s10, 0
	s_cbranch_scc1 .LBB0_105
; %bb.104:                              ;   in Loop: Header=BB0_106 Depth=1
	s_sleep 1
	s_cbranch_execnz .LBB0_106
	s_branch .LBB0_108
.LBB0_105:
	s_branch .LBB0_108
.LBB0_106:                              ; =>This Inner Loop Header: Depth=1
	v_mov_b32_e32 v0, 1
	s_and_saveexec_b64 s[10:11], s[4:5]
	s_cbranch_execz .LBB0_103
; %bb.107:                              ;   in Loop: Header=BB0_106 Depth=1
	global_load_dword v0, v[8:9], off offset:20 glc
	s_waitcnt vmcnt(0)
	buffer_wbinvl1_vol
	v_and_b32_e32 v0, 1, v0
	s_branch .LBB0_103
.LBB0_108:
	s_and_saveexec_b64 s[10:11], s[4:5]
	s_cbranch_execz .LBB0_111
; %bb.109:
	v_mov_b32_e32 v6, 0
	global_load_dwordx2 v[0:1], v6, s[6:7] offset:40
	global_load_dwordx2 v[9:10], v6, s[6:7] offset:24 glc
	global_load_dwordx2 v[2:3], v6, s[6:7]
	s_waitcnt vmcnt(2)
	v_readfirstlane_b32 s12, v0
	v_readfirstlane_b32 s13, v1
	s_add_u32 s14, s12, 1
	s_addc_u32 s15, s13, 0
	s_add_u32 s4, s14, s8
	s_addc_u32 s5, s15, s9
	s_cmp_eq_u64 s[4:5], 0
	s_cselect_b32 s5, s15, s5
	s_cselect_b32 s4, s14, s4
	s_and_b64 s[8:9], s[4:5], s[12:13]
	s_mul_i32 s9, s9, 24
	s_mul_hi_u32 s12, s8, 24
	s_mul_i32 s8, s8, 24
	s_add_i32 s9, s12, s9
	v_mov_b32_e32 v0, s9
	s_waitcnt vmcnt(0)
	v_add_co_u32_e32 v4, vcc, s8, v2
	v_addc_co_u32_e32 v5, vcc, v3, v0, vcc
	v_mov_b32_e32 v7, s4
	global_store_dwordx2 v[4:5], v[9:10], off
	v_mov_b32_e32 v8, s5
	s_waitcnt vmcnt(0)
	global_atomic_cmpswap_x2 v[2:3], v6, v[7:10], s[6:7] offset:24 glc
	s_mov_b64 s[8:9], 0
	s_waitcnt vmcnt(0)
	v_cmp_ne_u64_e32 vcc, v[2:3], v[9:10]
	s_and_b64 exec, exec, vcc
	s_cbranch_execz .LBB0_111
.LBB0_110:                              ; =>This Inner Loop Header: Depth=1
	s_sleep 1
	global_store_dwordx2 v[4:5], v[2:3], off
	v_mov_b32_e32 v0, s4
	v_mov_b32_e32 v1, s5
	s_waitcnt vmcnt(0)
	global_atomic_cmpswap_x2 v[0:1], v6, v[0:3], s[6:7] offset:24 glc
	s_waitcnt vmcnt(0)
	v_cmp_eq_u64_e32 vcc, v[0:1], v[2:3]
	v_mov_b32_e32 v3, v1
	s_or_b64 s[8:9], vcc, s[8:9]
	v_mov_b32_e32 v2, v0
	s_andn2_b64 exec, exec, s[8:9]
	s_cbranch_execnz .LBB0_110
.LBB0_111:
	s_or_b64 exec, exec, s[10:11]
	s_waitcnt vmcnt(0) lgkmcnt(0)
	s_setpc_b64 s[30:31]
.LBB0_112:
	s_cbranch_execnz .LBB0_86
.LBB0_113:
	s_waitcnt vmcnt(0) lgkmcnt(0)
	s_setpc_b64 s[30:31]
.Lfunc_end0:
	.size	__ockl_fprintf_append_string_n, .Lfunc_end0-__ockl_fprintf_append_string_n
                                        ; -- End function
	.set .L__ockl_fprintf_append_string_n.num_vgpr, 40
	.set .L__ockl_fprintf_append_string_n.num_agpr, 0
	.set .L__ockl_fprintf_append_string_n.numbered_sgpr, 32
	.set .L__ockl_fprintf_append_string_n.num_named_barrier, 0
	.set .L__ockl_fprintf_append_string_n.private_seg_size, 0
	.set .L__ockl_fprintf_append_string_n.uses_vcc, 1
	.set .L__ockl_fprintf_append_string_n.uses_flat_scratch, 0
	.set .L__ockl_fprintf_append_string_n.has_dyn_sized_stack, 0
	.set .L__ockl_fprintf_append_string_n.has_recursion, 0
	.set .L__ockl_fprintf_append_string_n.has_indirect_call, 0
	.section	.AMDGPU.csdata,"",@progbits
; Function info:
; codeLenInByte = 3900
; TotalNumSgprs: 36
; NumVgprs: 40
; ScratchSize: 0
; MemoryBound: 0
	.text
	.p2align	2                               ; -- Begin function __assert_fail
	.type	__assert_fail,@function
__assert_fail:                          ; @__assert_fail
; %bb.0:
	s_waitcnt vmcnt(0) expcnt(0) lgkmcnt(0)
	s_mov_b32 s25, s33
	s_mov_b32 s33, s32
	s_or_saveexec_b64 s[4:5], -1
	buffer_store_dword v40, off, s[0:3], s33 offset:48 ; 4-byte Folded Spill
	s_mov_b64 exec, s[4:5]
	v_writelane_b32 v40, s30, 0
	s_addk_i32 s32, 0x1000
	v_writelane_b32 v40, s31, 1
	v_mov_b32_e32 v8, 0
	s_getpc_b64 s[4:5]
	s_add_u32 s4, s4, __const.__assert_fail.fmt@rel32@lo+35
	s_addc_u32 s5, s5, __const.__assert_fail.fmt@rel32@hi+43
	v_mov_b32_e32 v5, v1
	v_mov_b32_e32 v4, v0
	global_load_dwordx4 v[0:3], v8, s[4:5]
	s_getpc_b64 s[16:17]
	s_add_u32 s16, s16, __const.__assert_fail.fmt@rel32@lo+4
	s_addc_u32 s17, s17, __const.__assert_fail.fmt@rel32@hi+12
	s_getpc_b64 s[18:19]
	s_add_u32 s18, s18, __const.__assert_fail.fmt@rel32@lo+20
	s_addc_u32 s19, s19, __const.__assert_fail.fmt@rel32@hi+28
	v_mbcnt_lo_u32_b32 v9, -1, 0
	s_load_dwordx4 s[4:7], s[16:17], 0x0
	s_load_dwordx4 s[12:15], s[18:19], 0x0
	s_load_dwordx2 s[10:11], s[8:9], 0x50
	v_mbcnt_hi_u32_b32 v34, -1, v9
	v_mov_b32_e32 v6, 0
	v_readfirstlane_b32 s16, v34
	v_mov_b32_e32 v7, 0
	s_waitcnt lgkmcnt(0)
	v_mov_b32_e32 v9, s7
	v_mov_b32_e32 v11, s5
	;; [unrolled: 1-line block ×3, first 2 shown]
	v_cmp_eq_u32_e64 s[4:5], s16, v34
	v_mov_b32_e32 v10, s6
	v_mov_b32_e32 v13, s15
	;; [unrolled: 1-line block ×5, first 2 shown]
	buffer_store_dword v9, off, s[0:3], s33 offset:12
	buffer_store_dword v10, off, s[0:3], s33 offset:8
	buffer_store_dword v11, off, s[0:3], s33 offset:4
	buffer_store_dword v12, off, s[0:3], s33
	buffer_store_dword v13, off, s[0:3], s33 offset:28
	buffer_store_dword v14, off, s[0:3], s33 offset:24
	;; [unrolled: 1-line block ×4, first 2 shown]
	s_waitcnt vmcnt(8)
	buffer_store_dword v3, off, s[0:3], s33 offset:43
	buffer_store_dword v2, off, s[0:3], s33 offset:39
	;; [unrolled: 1-line block ×4, first 2 shown]
	s_and_saveexec_b64 s[6:7], s[4:5]
	s_cbranch_execz .LBB1_6
; %bb.1:
	global_load_dwordx2 v[2:3], v8, s[10:11] offset:24 glc
	s_waitcnt vmcnt(0)
	buffer_wbinvl1_vol
	global_load_dwordx2 v[0:1], v8, s[10:11] offset:40
	global_load_dwordx2 v[6:7], v8, s[10:11]
	s_waitcnt vmcnt(1)
	v_and_b32_e32 v0, v0, v2
	v_and_b32_e32 v1, v1, v3
	v_mul_lo_u32 v1, v1, 24
	v_mul_hi_u32 v9, v0, 24
	v_mul_lo_u32 v0, v0, 24
	v_add_u32_e32 v1, v9, v1
	s_waitcnt vmcnt(0)
	v_add_co_u32_e32 v0, vcc, v6, v0
	v_addc_co_u32_e32 v1, vcc, v7, v1, vcc
	global_load_dwordx2 v[0:1], v[0:1], off glc
	s_waitcnt vmcnt(0)
	global_atomic_cmpswap_x2 v[6:7], v8, v[0:3], s[10:11] offset:24 glc
	s_waitcnt vmcnt(0)
	buffer_wbinvl1_vol
	v_cmp_ne_u64_e32 vcc, v[6:7], v[2:3]
	s_and_saveexec_b64 s[12:13], vcc
	s_cbranch_execz .LBB1_5
; %bb.2:
	s_mov_b64 s[14:15], 0
	v_mov_b32_e32 v0, 0
.LBB1_3:                                ; =>This Inner Loop Header: Depth=1
	s_sleep 1
	global_load_dwordx2 v[1:2], v0, s[10:11] offset:40
	global_load_dwordx2 v[9:10], v0, s[10:11]
	v_mov_b32_e32 v12, v7
	v_mov_b32_e32 v11, v6
	s_waitcnt vmcnt(1)
	v_and_b32_e32 v1, v1, v11
	s_waitcnt vmcnt(0)
	v_mad_u64_u32 v[6:7], s[16:17], v1, 24, v[9:10]
	v_and_b32_e32 v2, v2, v12
	v_mov_b32_e32 v1, v7
	v_mad_u64_u32 v[1:2], s[16:17], v2, 24, v[1:2]
	v_mov_b32_e32 v7, v1
	global_load_dwordx2 v[9:10], v[6:7], off glc
	s_waitcnt vmcnt(0)
	global_atomic_cmpswap_x2 v[6:7], v0, v[9:12], s[10:11] offset:24 glc
	s_waitcnt vmcnt(0)
	buffer_wbinvl1_vol
	v_cmp_eq_u64_e32 vcc, v[6:7], v[11:12]
	s_or_b64 s[14:15], vcc, s[14:15]
	s_andn2_b64 exec, exec, s[14:15]
	s_cbranch_execnz .LBB1_3
; %bb.4:
	s_or_b64 exec, exec, s[14:15]
.LBB1_5:
	s_or_b64 exec, exec, s[12:13]
.LBB1_6:
	s_or_b64 exec, exec, s[6:7]
	global_load_dwordx2 v[9:10], v8, s[10:11] offset:40
	global_load_dwordx4 v[0:3], v8, s[10:11]
	v_readfirstlane_b32 s7, v7
	v_readfirstlane_b32 s6, v6
	s_mov_b64 s[12:13], exec
	s_waitcnt vmcnt(1)
	v_readfirstlane_b32 s14, v9
	v_readfirstlane_b32 s15, v10
	s_and_b64 s[14:15], s[14:15], s[6:7]
	s_mul_i32 s16, s15, 24
	s_mul_hi_u32 s17, s14, 24
	s_mul_i32 s18, s14, 24
	s_add_i32 s16, s17, s16
	v_mov_b32_e32 v6, s16
	s_waitcnt vmcnt(0)
	v_add_co_u32_e32 v10, vcc, s18, v0
	v_addc_co_u32_e32 v11, vcc, v1, v6, vcc
	s_and_saveexec_b64 s[16:17], s[4:5]
	s_cbranch_execz .LBB1_8
; %bb.7:
	v_mov_b32_e32 v6, s12
	v_mov_b32_e32 v7, s13
	;; [unrolled: 1-line block ×4, first 2 shown]
	global_store_dwordx4 v[10:11], v[6:9], off offset:8
.LBB1_8:
	s_or_b64 exec, exec, s[16:17]
	s_lshl_b64 s[12:13], s[14:15], 12
	v_mov_b32_e32 v6, s13
	v_add_co_u32_e32 v2, vcc, s12, v2
	s_mov_b32 s12, 0
	v_addc_co_u32_e32 v3, vcc, v3, v6, vcc
	v_lshlrev_b32_e32 v35, 6, v34
	s_mov_b32 s15, s12
	v_mov_b32_e32 v7, 0
	v_add_co_u32_e32 v12, vcc, v2, v35
	s_mov_b32 s13, s12
	s_mov_b32 s14, s12
	v_mov_b32_e32 v17, s15
	v_addc_co_u32_e32 v13, vcc, 0, v3, vcc
	v_mov_b32_e32 v6, 33
	v_mov_b32_e32 v8, 1
	;; [unrolled: 1-line block ×3, first 2 shown]
	v_readfirstlane_b32 s16, v2
	v_readfirstlane_b32 s17, v3
	v_mov_b32_e32 v16, s14
	v_mov_b32_e32 v15, s13
	;; [unrolled: 1-line block ×3, first 2 shown]
	s_nop 1
	global_store_dwordx4 v35, v[6:9], s[16:17]
	global_store_dwordx4 v35, v[14:17], s[16:17] offset:16
	global_store_dwordx4 v35, v[14:17], s[16:17] offset:32
	;; [unrolled: 1-line block ×3, first 2 shown]
	s_and_saveexec_b64 s[12:13], s[4:5]
	s_cbranch_execz .LBB1_16
; %bb.9:
	global_load_dwordx2 v[16:17], v7, s[10:11] offset:32 glc
	global_load_dwordx2 v[2:3], v7, s[10:11] offset:40
	v_mov_b32_e32 v14, s6
	v_mov_b32_e32 v15, s7
	s_waitcnt vmcnt(0)
	v_and_b32_e32 v2, s6, v2
	v_and_b32_e32 v3, s7, v3
	v_mul_lo_u32 v3, v3, 24
	v_mul_hi_u32 v6, v2, 24
	v_mul_lo_u32 v2, v2, 24
	v_add_u32_e32 v3, v6, v3
	v_add_co_u32_e32 v8, vcc, v0, v2
	v_addc_co_u32_e32 v9, vcc, v1, v3, vcc
	global_store_dwordx2 v[8:9], v[16:17], off
	s_waitcnt vmcnt(0)
	global_atomic_cmpswap_x2 v[2:3], v7, v[14:17], s[10:11] offset:32 glc
	s_waitcnt vmcnt(0)
	v_cmp_ne_u64_e32 vcc, v[2:3], v[16:17]
	s_and_saveexec_b64 s[14:15], vcc
	s_cbranch_execz .LBB1_12
; %bb.10:
	s_mov_b64 s[16:17], 0
	v_mov_b32_e32 v6, 0
.LBB1_11:                               ; =>This Inner Loop Header: Depth=1
	s_sleep 1
	global_store_dwordx2 v[8:9], v[2:3], off
	v_mov_b32_e32 v0, s6
	v_mov_b32_e32 v1, s7
	s_waitcnt vmcnt(0)
	global_atomic_cmpswap_x2 v[0:1], v6, v[0:3], s[10:11] offset:32 glc
	s_waitcnt vmcnt(0)
	v_cmp_eq_u64_e32 vcc, v[0:1], v[2:3]
	v_mov_b32_e32 v3, v1
	s_or_b64 s[16:17], vcc, s[16:17]
	v_mov_b32_e32 v2, v0
	s_andn2_b64 exec, exec, s[16:17]
	s_cbranch_execnz .LBB1_11
.LBB1_12:
	s_or_b64 exec, exec, s[14:15]
	v_mov_b32_e32 v3, 0
	global_load_dwordx2 v[0:1], v3, s[10:11] offset:16
	s_mov_b64 s[14:15], exec
	v_mbcnt_lo_u32_b32 v2, s14, 0
	v_mbcnt_hi_u32_b32 v2, s15, v2
	v_cmp_eq_u32_e32 vcc, 0, v2
	s_and_saveexec_b64 s[16:17], vcc
	s_cbranch_execz .LBB1_14
; %bb.13:
	s_bcnt1_i32_b64 s14, s[14:15]
	v_mov_b32_e32 v2, s14
	s_waitcnt vmcnt(0)
	global_atomic_add_x2 v[0:1], v[2:3], off offset:8
.LBB1_14:
	s_or_b64 exec, exec, s[16:17]
	s_waitcnt vmcnt(0)
	global_load_dwordx2 v[2:3], v[0:1], off offset:16
	s_waitcnt vmcnt(0)
	v_cmp_eq_u64_e32 vcc, 0, v[2:3]
	s_cbranch_vccnz .LBB1_16
; %bb.15:
	global_load_dword v0, v[0:1], off offset:24
	v_mov_b32_e32 v1, 0
	s_waitcnt vmcnt(0)
	v_readfirstlane_b32 s14, v0
	s_and_b32 m0, s14, 0xffffff
	global_store_dwordx2 v[2:3], v[0:1], off
	s_sendmsg sendmsg(MSG_INTERRUPT)
.LBB1_16:
	s_or_b64 exec, exec, s[12:13]
	s_branch .LBB1_20
.LBB1_17:                               ;   in Loop: Header=BB1_20 Depth=1
	s_or_b64 exec, exec, s[12:13]
	v_readfirstlane_b32 s12, v0
	s_cmp_eq_u32 s12, 0
	s_cbranch_scc1 .LBB1_19
; %bb.18:                               ;   in Loop: Header=BB1_20 Depth=1
	s_sleep 1
	s_cbranch_execnz .LBB1_20
	s_branch .LBB1_22
.LBB1_19:
	s_branch .LBB1_22
.LBB1_20:                               ; =>This Inner Loop Header: Depth=1
	v_mov_b32_e32 v0, 1
	s_and_saveexec_b64 s[12:13], s[4:5]
	s_cbranch_execz .LBB1_17
; %bb.21:                               ;   in Loop: Header=BB1_20 Depth=1
	global_load_dword v0, v[10:11], off offset:20 glc
	s_waitcnt vmcnt(0)
	buffer_wbinvl1_vol
	v_and_b32_e32 v0, 1, v0
	s_branch .LBB1_17
.LBB1_22:
	global_load_dwordx2 v[6:7], v[12:13], off
	s_and_saveexec_b64 s[12:13], s[4:5]
	s_cbranch_execz .LBB1_25
; %bb.23:
	v_mov_b32_e32 v10, 0
	global_load_dwordx2 v[0:1], v10, s[10:11] offset:40
	global_load_dwordx2 v[13:14], v10, s[10:11] offset:24 glc
	global_load_dwordx2 v[2:3], v10, s[10:11]
	s_waitcnt vmcnt(2)
	v_readfirstlane_b32 s14, v0
	v_readfirstlane_b32 s15, v1
	s_add_u32 s16, s14, 1
	s_addc_u32 s17, s15, 0
	s_add_u32 s4, s16, s6
	s_addc_u32 s5, s17, s7
	s_cmp_eq_u64 s[4:5], 0
	s_cselect_b32 s5, s17, s5
	s_cselect_b32 s4, s16, s4
	s_and_b64 s[6:7], s[4:5], s[14:15]
	s_mul_i32 s7, s7, 24
	s_mul_hi_u32 s14, s6, 24
	s_mul_i32 s6, s6, 24
	s_add_i32 s7, s14, s7
	v_mov_b32_e32 v0, s7
	s_waitcnt vmcnt(0)
	v_add_co_u32_e32 v8, vcc, s6, v2
	v_addc_co_u32_e32 v9, vcc, v3, v0, vcc
	v_mov_b32_e32 v11, s4
	global_store_dwordx2 v[8:9], v[13:14], off
	v_mov_b32_e32 v12, s5
	s_waitcnt vmcnt(0)
	global_atomic_cmpswap_x2 v[2:3], v10, v[11:14], s[10:11] offset:24 glc
	s_mov_b64 s[6:7], 0
	s_waitcnt vmcnt(0)
	v_cmp_ne_u64_e32 vcc, v[2:3], v[13:14]
	s_and_b64 exec, exec, vcc
	s_cbranch_execz .LBB1_25
.LBB1_24:                               ; =>This Inner Loop Header: Depth=1
	s_sleep 1
	global_store_dwordx2 v[8:9], v[2:3], off
	v_mov_b32_e32 v0, s4
	v_mov_b32_e32 v1, s5
	s_waitcnt vmcnt(0)
	global_atomic_cmpswap_x2 v[0:1], v10, v[0:3], s[10:11] offset:24 glc
	s_waitcnt vmcnt(0)
	v_cmp_eq_u64_e32 vcc, v[0:1], v[2:3]
	v_mov_b32_e32 v3, v1
	s_or_b64 s[6:7], vcc, s[6:7]
	v_mov_b32_e32 v2, v0
	s_andn2_b64 exec, exec, s[6:7]
	s_cbranch_execnz .LBB1_24
.LBB1_25:
	s_or_b64 exec, exec, s[12:13]
	s_lshr_b32 s6, s33, 6
	s_mov_b64 s[4:5], 0
.LBB1_26:                               ; =>This Inner Loop Header: Depth=1
	v_mov_b32_e32 v0, s6
	buffer_load_ubyte v1, v0, s[0:3], 0 offen
	s_add_i32 s6, s6, 1
	v_mov_b32_e32 v0, s6
	s_waitcnt vmcnt(0)
	v_cmp_eq_u16_e32 vcc, 0, v1
	s_or_b64 s[4:5], vcc, s[4:5]
	s_andn2_b64 exec, exec, s[4:5]
	s_cbranch_execnz .LBB1_26
; %bb.27:
	s_or_b64 exec, exec, s[4:5]
	s_lshr_b32 s4, s33, 6
	s_cmp_lg_u32 s4, -1
	s_cbranch_scc0 .LBB1_112
; %bb.28:
	v_lshrrev_b32_e64 v1, 6, s33
	v_subrev_u32_e32 v28, v1, v0
	v_ashrrev_i32_e32 v29, 31, v28
	v_and_b32_e32 v36, 2, v6
	v_mov_b32_e32 v31, 0
	v_and_b32_e32 v0, -3, v6
	v_mov_b32_e32 v1, v7
	s_mov_b64 s[12:13], 0
	v_lshrrev_b32_e64 v37, 6, s33
	s_mov_b32 s20, 0
	s_movk_i32 s21, 0x1e0
	v_mov_b32_e32 v10, 2
	v_mov_b32_e32 v11, 1
	s_branch .LBB1_30
.LBB1_29:                               ;   in Loop: Header=BB1_30 Depth=1
	s_or_b64 exec, exec, s[6:7]
	v_sub_co_u32_e32 v28, vcc, v28, v38
	v_subb_co_u32_e32 v29, vcc, v29, v39, vcc
	v_cmp_eq_u64_e32 vcc, 0, v[28:29]
	v_add_u32_e32 v37, v37, v38
	s_or_b64 s[12:13], vcc, s[12:13]
	s_andn2_b64 exec, exec, s[12:13]
	s_cbranch_execz .LBB1_113
.LBB1_30:                               ; =>This Loop Header: Depth=1
                                        ;     Child Loop BB1_33 Depth 2
                                        ;     Child Loop BB1_41 Depth 2
	;; [unrolled: 1-line block ×11, first 2 shown]
	v_cmp_gt_u64_e32 vcc, 56, v[28:29]
	v_cmp_gt_u64_e64 s[4:5], 8, v[28:29]
	v_cndmask_b32_e32 v38, 56, v28, vcc
	v_add_u32_e32 v9, 8, v37
	s_and_saveexec_b64 s[6:7], s[4:5]
	s_xor_b64 s[6:7], exec, s[6:7]
	s_cbranch_execz .LBB1_36
; %bb.31:                               ;   in Loop: Header=BB1_30 Depth=1
	v_mov_b32_e32 v2, 0
	v_cmp_ne_u64_e64 s[4:5], 0, v[28:29]
	v_mov_b32_e32 v3, 0
	s_and_saveexec_b64 s[14:15], s[4:5]
	s_cbranch_execz .LBB1_35
; %bb.32:                               ;   in Loop: Header=BB1_30 Depth=1
	v_mov_b32_e32 v2, 0
	s_mov_b32 s22, 0
	s_mov_b64 s[16:17], 0
	v_mov_b32_e32 v3, 0
	s_mov_b64 s[18:19], 0
.LBB1_33:                               ;   Parent Loop BB1_30 Depth=1
                                        ; =>  This Inner Loop Header: Depth=2
	v_add_u32_e32 v8, s22, v37
	buffer_load_ubyte v8, v8, s[0:3], 0 offen
	v_mov_b32_e32 v9, s20
	s_add_i32 s22, s22, 1
	v_cmp_eq_u32_e64 s[4:5], s22, v38
	s_waitcnt vmcnt(0)
	v_and_b32_e32 v8, 0xffff, v8
	v_lshlrev_b64 v[8:9], s18, v[8:9]
	s_add_u32 s18, s18, 8
	s_addc_u32 s19, s19, 0
	v_or_b32_e32 v3, v9, v3
	s_or_b64 s[16:17], s[4:5], s[16:17]
	v_or_b32_e32 v2, v8, v2
	s_andn2_b64 exec, exec, s[16:17]
	s_cbranch_execnz .LBB1_33
; %bb.34:                               ;   in Loop: Header=BB1_30 Depth=1
	s_or_b64 exec, exec, s[16:17]
.LBB1_35:                               ;   in Loop: Header=BB1_30 Depth=1
	s_or_b64 exec, exec, s[14:15]
	v_mov_b32_e32 v9, v37
.LBB1_36:                               ;   in Loop: Header=BB1_30 Depth=1
	s_or_saveexec_b64 s[4:5], s[6:7]
	v_mov_b32_e32 v14, 0
	s_xor_b64 exec, exec, s[4:5]
	s_cbranch_execz .LBB1_38
; %bb.37:                               ;   in Loop: Header=BB1_30 Depth=1
	buffer_load_dword v2, v37, s[0:3], 0 offen
	buffer_load_dword v3, v37, s[0:3], 0 offen offset:4
	v_add_u32_e32 v14, -8, v38
.LBB1_38:                               ;   in Loop: Header=BB1_30 Depth=1
	s_or_b64 exec, exec, s[4:5]
	v_cmp_gt_u32_e64 s[4:5], 8, v14
	v_add_u32_e32 v8, 8, v9
                                        ; implicit-def: $vgpr12_vgpr13
	s_and_saveexec_b64 s[6:7], s[4:5]
	s_xor_b64 s[6:7], exec, s[6:7]
	s_cbranch_execz .LBB1_44
; %bb.39:                               ;   in Loop: Header=BB1_30 Depth=1
	v_mov_b32_e32 v12, 0
	v_mov_b32_e32 v13, 0
	v_cmp_ne_u32_e64 s[4:5], 0, v14
	s_and_saveexec_b64 s[14:15], s[4:5]
	s_cbranch_execz .LBB1_43
; %bb.40:                               ;   in Loop: Header=BB1_30 Depth=1
	v_mov_b32_e32 v12, 0
	s_mov_b32 s22, 0
	s_mov_b64 s[16:17], 0
	v_mov_b32_e32 v13, 0
	s_mov_b64 s[18:19], 0
.LBB1_41:                               ;   Parent Loop BB1_30 Depth=1
                                        ; =>  This Inner Loop Header: Depth=2
	v_add_u32_e32 v8, s22, v9
	buffer_load_ubyte v8, v8, s[0:3], 0 offen
	v_mov_b32_e32 v16, s20
	s_add_i32 s22, s22, 1
	v_cmp_eq_u32_e64 s[4:5], s22, v14
	s_waitcnt vmcnt(0)
	v_and_b32_e32 v15, 0xffff, v8
	v_lshlrev_b64 v[15:16], s18, v[15:16]
	s_add_u32 s18, s18, 8
	s_addc_u32 s19, s19, 0
	v_or_b32_e32 v13, v16, v13
	s_or_b64 s[16:17], s[4:5], s[16:17]
	v_or_b32_e32 v12, v15, v12
	s_andn2_b64 exec, exec, s[16:17]
	s_cbranch_execnz .LBB1_41
; %bb.42:                               ;   in Loop: Header=BB1_30 Depth=1
	s_or_b64 exec, exec, s[16:17]
.LBB1_43:                               ;   in Loop: Header=BB1_30 Depth=1
	s_or_b64 exec, exec, s[14:15]
	v_mov_b32_e32 v8, v9
                                        ; implicit-def: $vgpr14
.LBB1_44:                               ;   in Loop: Header=BB1_30 Depth=1
	s_or_saveexec_b64 s[4:5], s[6:7]
	v_mov_b32_e32 v16, 0
	s_xor_b64 exec, exec, s[4:5]
	s_cbranch_execz .LBB1_46
; %bb.45:                               ;   in Loop: Header=BB1_30 Depth=1
	buffer_load_dword v12, v9, s[0:3], 0 offen
	buffer_load_dword v13, v9, s[0:3], 0 offen offset:4
	v_add_u32_e32 v16, -8, v14
.LBB1_46:                               ;   in Loop: Header=BB1_30 Depth=1
	s_or_b64 exec, exec, s[4:5]
	v_cmp_gt_u32_e64 s[4:5], 8, v16
	v_add_u32_e32 v9, 8, v8
	s_and_saveexec_b64 s[6:7], s[4:5]
	s_xor_b64 s[6:7], exec, s[6:7]
	s_cbranch_execz .LBB1_52
; %bb.47:                               ;   in Loop: Header=BB1_30 Depth=1
	v_mov_b32_e32 v14, 0
	v_mov_b32_e32 v15, 0
	v_cmp_ne_u32_e64 s[4:5], 0, v16
	s_and_saveexec_b64 s[14:15], s[4:5]
	s_cbranch_execz .LBB1_51
; %bb.48:                               ;   in Loop: Header=BB1_30 Depth=1
	v_mov_b32_e32 v14, 0
	s_mov_b32 s22, 0
	s_mov_b64 s[16:17], 0
	v_mov_b32_e32 v15, 0
	s_mov_b64 s[18:19], 0
.LBB1_49:                               ;   Parent Loop BB1_30 Depth=1
                                        ; =>  This Inner Loop Header: Depth=2
	v_add_u32_e32 v9, s22, v8
	buffer_load_ubyte v9, v9, s[0:3], 0 offen
	v_mov_b32_e32 v18, s20
	s_add_i32 s22, s22, 1
	v_cmp_eq_u32_e64 s[4:5], s22, v16
	s_waitcnt vmcnt(0)
	v_and_b32_e32 v17, 0xffff, v9
	v_lshlrev_b64 v[17:18], s18, v[17:18]
	s_add_u32 s18, s18, 8
	s_addc_u32 s19, s19, 0
	v_or_b32_e32 v15, v18, v15
	s_or_b64 s[16:17], s[4:5], s[16:17]
	v_or_b32_e32 v14, v17, v14
	s_andn2_b64 exec, exec, s[16:17]
	s_cbranch_execnz .LBB1_49
; %bb.50:                               ;   in Loop: Header=BB1_30 Depth=1
	s_or_b64 exec, exec, s[16:17]
.LBB1_51:                               ;   in Loop: Header=BB1_30 Depth=1
	s_or_b64 exec, exec, s[14:15]
	v_mov_b32_e32 v9, v8
                                        ; implicit-def: $vgpr16
.LBB1_52:                               ;   in Loop: Header=BB1_30 Depth=1
	s_or_saveexec_b64 s[4:5], s[6:7]
	v_mov_b32_e32 v18, 0
	s_xor_b64 exec, exec, s[4:5]
	s_cbranch_execz .LBB1_54
; %bb.53:                               ;   in Loop: Header=BB1_30 Depth=1
	buffer_load_dword v14, v8, s[0:3], 0 offen
	buffer_load_dword v15, v8, s[0:3], 0 offen offset:4
	v_add_u32_e32 v18, -8, v16
.LBB1_54:                               ;   in Loop: Header=BB1_30 Depth=1
	s_or_b64 exec, exec, s[4:5]
	v_cmp_gt_u32_e64 s[4:5], 8, v18
	v_add_u32_e32 v8, 8, v9
                                        ; implicit-def: $vgpr16_vgpr17
	s_and_saveexec_b64 s[6:7], s[4:5]
	s_xor_b64 s[6:7], exec, s[6:7]
	s_cbranch_execz .LBB1_60
; %bb.55:                               ;   in Loop: Header=BB1_30 Depth=1
	v_mov_b32_e32 v16, 0
	v_mov_b32_e32 v17, 0
	v_cmp_ne_u32_e64 s[4:5], 0, v18
	s_and_saveexec_b64 s[14:15], s[4:5]
	s_cbranch_execz .LBB1_59
; %bb.56:                               ;   in Loop: Header=BB1_30 Depth=1
	v_mov_b32_e32 v16, 0
	s_mov_b32 s22, 0
	s_mov_b64 s[16:17], 0
	v_mov_b32_e32 v17, 0
	s_mov_b64 s[18:19], 0
.LBB1_57:                               ;   Parent Loop BB1_30 Depth=1
                                        ; =>  This Inner Loop Header: Depth=2
	v_add_u32_e32 v8, s22, v9
	buffer_load_ubyte v8, v8, s[0:3], 0 offen
	v_mov_b32_e32 v20, s20
	s_add_i32 s22, s22, 1
	v_cmp_eq_u32_e64 s[4:5], s22, v18
	s_waitcnt vmcnt(0)
	v_and_b32_e32 v19, 0xffff, v8
	v_lshlrev_b64 v[19:20], s18, v[19:20]
	s_add_u32 s18, s18, 8
	s_addc_u32 s19, s19, 0
	v_or_b32_e32 v17, v20, v17
	s_or_b64 s[16:17], s[4:5], s[16:17]
	v_or_b32_e32 v16, v19, v16
	s_andn2_b64 exec, exec, s[16:17]
	s_cbranch_execnz .LBB1_57
; %bb.58:                               ;   in Loop: Header=BB1_30 Depth=1
	s_or_b64 exec, exec, s[16:17]
.LBB1_59:                               ;   in Loop: Header=BB1_30 Depth=1
	s_or_b64 exec, exec, s[14:15]
	v_mov_b32_e32 v8, v9
                                        ; implicit-def: $vgpr18
.LBB1_60:                               ;   in Loop: Header=BB1_30 Depth=1
	s_or_saveexec_b64 s[4:5], s[6:7]
	v_mov_b32_e32 v20, 0
	s_xor_b64 exec, exec, s[4:5]
	s_cbranch_execz .LBB1_62
; %bb.61:                               ;   in Loop: Header=BB1_30 Depth=1
	buffer_load_dword v16, v9, s[0:3], 0 offen
	buffer_load_dword v17, v9, s[0:3], 0 offen offset:4
	v_add_u32_e32 v20, -8, v18
.LBB1_62:                               ;   in Loop: Header=BB1_30 Depth=1
	s_or_b64 exec, exec, s[4:5]
	v_cmp_gt_u32_e64 s[4:5], 8, v20
	v_add_u32_e32 v9, 8, v8
	s_and_saveexec_b64 s[6:7], s[4:5]
	s_xor_b64 s[6:7], exec, s[6:7]
	s_cbranch_execz .LBB1_68
; %bb.63:                               ;   in Loop: Header=BB1_30 Depth=1
	v_mov_b32_e32 v18, 0
	v_mov_b32_e32 v19, 0
	v_cmp_ne_u32_e64 s[4:5], 0, v20
	s_and_saveexec_b64 s[14:15], s[4:5]
	s_cbranch_execz .LBB1_67
; %bb.64:                               ;   in Loop: Header=BB1_30 Depth=1
	v_mov_b32_e32 v18, 0
	s_mov_b32 s22, 0
	s_mov_b64 s[16:17], 0
	v_mov_b32_e32 v19, 0
	s_mov_b64 s[18:19], 0
.LBB1_65:                               ;   Parent Loop BB1_30 Depth=1
                                        ; =>  This Inner Loop Header: Depth=2
	v_add_u32_e32 v9, s22, v8
	buffer_load_ubyte v9, v9, s[0:3], 0 offen
	v_mov_b32_e32 v22, s20
	s_add_i32 s22, s22, 1
	v_cmp_eq_u32_e64 s[4:5], s22, v20
	s_waitcnt vmcnt(0)
	v_and_b32_e32 v21, 0xffff, v9
	v_lshlrev_b64 v[21:22], s18, v[21:22]
	s_add_u32 s18, s18, 8
	s_addc_u32 s19, s19, 0
	v_or_b32_e32 v19, v22, v19
	s_or_b64 s[16:17], s[4:5], s[16:17]
	v_or_b32_e32 v18, v21, v18
	s_andn2_b64 exec, exec, s[16:17]
	s_cbranch_execnz .LBB1_65
; %bb.66:                               ;   in Loop: Header=BB1_30 Depth=1
	s_or_b64 exec, exec, s[16:17]
.LBB1_67:                               ;   in Loop: Header=BB1_30 Depth=1
	s_or_b64 exec, exec, s[14:15]
	v_mov_b32_e32 v9, v8
                                        ; implicit-def: $vgpr20
.LBB1_68:                               ;   in Loop: Header=BB1_30 Depth=1
	s_or_saveexec_b64 s[4:5], s[6:7]
	v_mov_b32_e32 v22, 0
	s_xor_b64 exec, exec, s[4:5]
	s_cbranch_execz .LBB1_70
; %bb.69:                               ;   in Loop: Header=BB1_30 Depth=1
	buffer_load_dword v18, v8, s[0:3], 0 offen
	buffer_load_dword v19, v8, s[0:3], 0 offen offset:4
	v_add_u32_e32 v22, -8, v20
.LBB1_70:                               ;   in Loop: Header=BB1_30 Depth=1
	s_or_b64 exec, exec, s[4:5]
	v_cmp_gt_u32_e64 s[4:5], 8, v22
	v_add_u32_e32 v8, 8, v9
                                        ; implicit-def: $vgpr20_vgpr21
	s_and_saveexec_b64 s[6:7], s[4:5]
	s_xor_b64 s[6:7], exec, s[6:7]
	s_cbranch_execz .LBB1_76
; %bb.71:                               ;   in Loop: Header=BB1_30 Depth=1
	v_mov_b32_e32 v20, 0
	v_mov_b32_e32 v21, 0
	v_cmp_ne_u32_e64 s[4:5], 0, v22
	s_and_saveexec_b64 s[14:15], s[4:5]
	s_cbranch_execz .LBB1_75
; %bb.72:                               ;   in Loop: Header=BB1_30 Depth=1
	v_mov_b32_e32 v20, 0
	s_mov_b32 s22, 0
	s_mov_b64 s[16:17], 0
	v_mov_b32_e32 v21, 0
	s_mov_b64 s[18:19], 0
.LBB1_73:                               ;   Parent Loop BB1_30 Depth=1
                                        ; =>  This Inner Loop Header: Depth=2
	v_add_u32_e32 v8, s22, v9
	buffer_load_ubyte v8, v8, s[0:3], 0 offen
	v_mov_b32_e32 v24, s20
	s_add_i32 s22, s22, 1
	v_cmp_eq_u32_e64 s[4:5], s22, v22
	s_waitcnt vmcnt(0)
	v_and_b32_e32 v23, 0xffff, v8
	v_lshlrev_b64 v[23:24], s18, v[23:24]
	s_add_u32 s18, s18, 8
	s_addc_u32 s19, s19, 0
	v_or_b32_e32 v21, v24, v21
	s_or_b64 s[16:17], s[4:5], s[16:17]
	v_or_b32_e32 v20, v23, v20
	s_andn2_b64 exec, exec, s[16:17]
	s_cbranch_execnz .LBB1_73
; %bb.74:                               ;   in Loop: Header=BB1_30 Depth=1
	s_or_b64 exec, exec, s[16:17]
.LBB1_75:                               ;   in Loop: Header=BB1_30 Depth=1
	s_or_b64 exec, exec, s[14:15]
	v_mov_b32_e32 v8, v9
                                        ; implicit-def: $vgpr22
.LBB1_76:                               ;   in Loop: Header=BB1_30 Depth=1
	s_or_saveexec_b64 s[4:5], s[6:7]
	v_mov_b32_e32 v24, 0
	s_xor_b64 exec, exec, s[4:5]
	s_cbranch_execz .LBB1_78
; %bb.77:                               ;   in Loop: Header=BB1_30 Depth=1
	buffer_load_dword v20, v9, s[0:3], 0 offen
	buffer_load_dword v21, v9, s[0:3], 0 offen offset:4
	v_add_u32_e32 v24, -8, v22
.LBB1_78:                               ;   in Loop: Header=BB1_30 Depth=1
	s_or_b64 exec, exec, s[4:5]
	v_cmp_gt_u32_e64 s[4:5], 8, v24
	s_and_saveexec_b64 s[6:7], s[4:5]
	s_xor_b64 s[6:7], exec, s[6:7]
	s_cbranch_execz .LBB1_84
; %bb.79:                               ;   in Loop: Header=BB1_30 Depth=1
	v_mov_b32_e32 v22, 0
	v_mov_b32_e32 v23, 0
	v_cmp_ne_u32_e64 s[4:5], 0, v24
	s_and_saveexec_b64 s[14:15], s[4:5]
	s_cbranch_execz .LBB1_83
; %bb.80:                               ;   in Loop: Header=BB1_30 Depth=1
	v_mov_b32_e32 v22, 0
	s_mov_b64 s[16:17], 0
	v_mov_b32_e32 v23, 0
	s_mov_b64 s[18:19], 0
.LBB1_81:                               ;   Parent Loop BB1_30 Depth=1
                                        ; =>  This Inner Loop Header: Depth=2
	buffer_load_ubyte v9, v8, s[0:3], 0 offen
	v_mov_b32_e32 v26, s20
	v_add_u32_e32 v24, -1, v24
	v_cmp_eq_u32_e64 s[4:5], 0, v24
	v_add_u32_e32 v8, 1, v8
	s_waitcnt vmcnt(0)
	v_and_b32_e32 v25, 0xffff, v9
	v_lshlrev_b64 v[25:26], s18, v[25:26]
	s_add_u32 s18, s18, 8
	s_addc_u32 s19, s19, 0
	v_or_b32_e32 v23, v26, v23
	s_or_b64 s[16:17], s[4:5], s[16:17]
	v_or_b32_e32 v22, v25, v22
	s_andn2_b64 exec, exec, s[16:17]
	s_cbranch_execnz .LBB1_81
; %bb.82:                               ;   in Loop: Header=BB1_30 Depth=1
	s_or_b64 exec, exec, s[16:17]
.LBB1_83:                               ;   in Loop: Header=BB1_30 Depth=1
	s_or_b64 exec, exec, s[14:15]
                                        ; implicit-def: $vgpr8
.LBB1_84:                               ;   in Loop: Header=BB1_30 Depth=1
	s_andn2_saveexec_b64 s[4:5], s[6:7]
	s_cbranch_execz .LBB1_86
; %bb.85:                               ;   in Loop: Header=BB1_30 Depth=1
	buffer_load_dword v22, v8, s[0:3], 0 offen
	buffer_load_dword v23, v8, s[0:3], 0 offen offset:4
.LBB1_86:                               ;   in Loop: Header=BB1_30 Depth=1
	s_or_b64 exec, exec, s[4:5]
	v_readfirstlane_b32 s4, v34
	v_mov_b32_e32 v8, 0
	v_mov_b32_e32 v9, 0
	v_cmp_eq_u32_e64 s[4:5], s4, v34
	s_and_saveexec_b64 s[14:15], s[4:5]
	s_cbranch_execz .LBB1_92
; %bb.87:                               ;   in Loop: Header=BB1_30 Depth=1
	global_load_dwordx2 v[26:27], v31, s[10:11] offset:24 glc
	s_waitcnt vmcnt(0)
	buffer_wbinvl1_vol
	global_load_dwordx2 v[8:9], v31, s[10:11] offset:40
	global_load_dwordx2 v[24:25], v31, s[10:11]
	s_waitcnt vmcnt(1)
	v_and_b32_e32 v8, v8, v26
	v_and_b32_e32 v9, v9, v27
	v_mul_lo_u32 v9, v9, 24
	v_mul_hi_u32 v30, v8, 24
	v_mul_lo_u32 v8, v8, 24
	v_add_u32_e32 v9, v30, v9
	s_waitcnt vmcnt(0)
	v_add_co_u32_e64 v8, s[6:7], v24, v8
	v_addc_co_u32_e64 v9, s[6:7], v25, v9, s[6:7]
	global_load_dwordx2 v[24:25], v[8:9], off glc
	s_waitcnt vmcnt(0)
	global_atomic_cmpswap_x2 v[8:9], v31, v[24:27], s[10:11] offset:24 glc
	s_waitcnt vmcnt(0)
	buffer_wbinvl1_vol
	v_cmp_ne_u64_e64 s[6:7], v[8:9], v[26:27]
	s_and_saveexec_b64 s[16:17], s[6:7]
	s_cbranch_execz .LBB1_91
; %bb.88:                               ;   in Loop: Header=BB1_30 Depth=1
	s_mov_b64 s[18:19], 0
.LBB1_89:                               ;   Parent Loop BB1_30 Depth=1
                                        ; =>  This Inner Loop Header: Depth=2
	s_sleep 1
	global_load_dwordx2 v[24:25], v31, s[10:11] offset:40
	global_load_dwordx2 v[32:33], v31, s[10:11]
	v_mov_b32_e32 v27, v9
	v_mov_b32_e32 v26, v8
	s_waitcnt vmcnt(1)
	v_and_b32_e32 v8, v24, v26
	s_waitcnt vmcnt(0)
	v_mad_u64_u32 v[8:9], s[6:7], v8, 24, v[32:33]
	v_and_b32_e32 v24, v25, v27
	v_mad_u64_u32 v[24:25], s[6:7], v24, 24, v[9:10]
	v_mov_b32_e32 v9, v24
	global_load_dwordx2 v[24:25], v[8:9], off glc
	s_waitcnt vmcnt(0)
	global_atomic_cmpswap_x2 v[8:9], v31, v[24:27], s[10:11] offset:24 glc
	s_waitcnt vmcnt(0)
	buffer_wbinvl1_vol
	v_cmp_eq_u64_e64 s[6:7], v[8:9], v[26:27]
	s_or_b64 s[18:19], s[6:7], s[18:19]
	s_andn2_b64 exec, exec, s[18:19]
	s_cbranch_execnz .LBB1_89
; %bb.90:                               ;   in Loop: Header=BB1_30 Depth=1
	s_or_b64 exec, exec, s[18:19]
.LBB1_91:                               ;   in Loop: Header=BB1_30 Depth=1
	s_or_b64 exec, exec, s[16:17]
.LBB1_92:                               ;   in Loop: Header=BB1_30 Depth=1
	s_or_b64 exec, exec, s[14:15]
	global_load_dwordx2 v[32:33], v31, s[10:11] offset:40
	global_load_dwordx4 v[24:27], v31, s[10:11]
	v_readfirstlane_b32 s15, v9
	v_readfirstlane_b32 s14, v8
	s_mov_b64 s[16:17], exec
	s_waitcnt vmcnt(1)
	v_readfirstlane_b32 s6, v32
	v_readfirstlane_b32 s7, v33
	s_and_b64 s[18:19], s[6:7], s[14:15]
	s_mul_i32 s6, s19, 24
	s_mul_hi_u32 s7, s18, 24
	s_mul_i32 s22, s18, 24
	s_add_i32 s6, s7, s6
	v_mov_b32_e32 v8, s6
	s_waitcnt vmcnt(0)
	v_add_co_u32_e64 v32, s[6:7], s22, v24
	v_addc_co_u32_e64 v33, s[6:7], v25, v8, s[6:7]
	s_and_saveexec_b64 s[6:7], s[4:5]
	s_cbranch_execz .LBB1_94
; %bb.93:                               ;   in Loop: Header=BB1_30 Depth=1
	v_mov_b32_e32 v8, s16
	v_mov_b32_e32 v9, s17
	global_store_dwordx4 v[32:33], v[8:11], off offset:8
.LBB1_94:                               ;   in Loop: Header=BB1_30 Depth=1
	s_or_b64 exec, exec, s[6:7]
	s_lshl_b64 s[6:7], s[18:19], 12
	v_cndmask_b32_e32 v39, 0, v29, vcc
	v_mov_b32_e32 v8, s7
	v_add_co_u32_e32 v26, vcc, s6, v26
	v_addc_co_u32_e32 v27, vcc, v27, v8, vcc
	v_cmp_gt_u64_e32 vcc, 57, v[28:29]
	v_and_b32_e32 v0, 0xffffff1f, v0
	v_cndmask_b32_e32 v8, 0, v36, vcc
	v_lshl_add_u32 v9, v38, 2, 28
	v_or_b32_e32 v0, v0, v8
	v_and_or_b32 v0, v9, s21, v0
	v_readfirstlane_b32 s6, v26
	v_readfirstlane_b32 s7, v27
	s_nop 4
	global_store_dwordx4 v35, v[0:3], s[6:7]
	global_store_dwordx4 v35, v[12:15], s[6:7] offset:16
	global_store_dwordx4 v35, v[16:19], s[6:7] offset:32
	global_store_dwordx4 v35, v[20:23], s[6:7] offset:48
	s_and_saveexec_b64 s[6:7], s[4:5]
	s_cbranch_execz .LBB1_102
; %bb.95:                               ;   in Loop: Header=BB1_30 Depth=1
	global_load_dwordx2 v[14:15], v31, s[10:11] offset:32 glc
	global_load_dwordx2 v[0:1], v31, s[10:11] offset:40
	v_mov_b32_e32 v12, s14
	v_mov_b32_e32 v13, s15
	s_waitcnt vmcnt(0)
	v_readfirstlane_b32 s16, v0
	v_readfirstlane_b32 s17, v1
	s_and_b64 s[16:17], s[16:17], s[14:15]
	s_mul_i32 s17, s17, 24
	s_mul_hi_u32 s18, s16, 24
	s_mul_i32 s16, s16, 24
	s_add_i32 s17, s18, s17
	v_mov_b32_e32 v0, s17
	v_add_co_u32_e32 v8, vcc, s16, v24
	v_addc_co_u32_e32 v9, vcc, v25, v0, vcc
	global_store_dwordx2 v[8:9], v[14:15], off
	s_waitcnt vmcnt(0)
	global_atomic_cmpswap_x2 v[2:3], v31, v[12:15], s[10:11] offset:32 glc
	s_waitcnt vmcnt(0)
	v_cmp_ne_u64_e32 vcc, v[2:3], v[14:15]
	s_and_saveexec_b64 s[16:17], vcc
	s_cbranch_execz .LBB1_98
; %bb.96:                               ;   in Loop: Header=BB1_30 Depth=1
	s_mov_b64 s[18:19], 0
.LBB1_97:                               ;   Parent Loop BB1_30 Depth=1
                                        ; =>  This Inner Loop Header: Depth=2
	s_sleep 1
	global_store_dwordx2 v[8:9], v[2:3], off
	v_mov_b32_e32 v0, s14
	v_mov_b32_e32 v1, s15
	s_waitcnt vmcnt(0)
	global_atomic_cmpswap_x2 v[0:1], v31, v[0:3], s[10:11] offset:32 glc
	s_waitcnt vmcnt(0)
	v_cmp_eq_u64_e32 vcc, v[0:1], v[2:3]
	v_mov_b32_e32 v3, v1
	s_or_b64 s[18:19], vcc, s[18:19]
	v_mov_b32_e32 v2, v0
	s_andn2_b64 exec, exec, s[18:19]
	s_cbranch_execnz .LBB1_97
.LBB1_98:                               ;   in Loop: Header=BB1_30 Depth=1
	s_or_b64 exec, exec, s[16:17]
	global_load_dwordx2 v[0:1], v31, s[10:11] offset:16
	s_mov_b64 s[18:19], exec
	v_mbcnt_lo_u32_b32 v2, s18, 0
	v_mbcnt_hi_u32_b32 v2, s19, v2
	v_cmp_eq_u32_e32 vcc, 0, v2
	s_and_saveexec_b64 s[16:17], vcc
	s_cbranch_execz .LBB1_100
; %bb.99:                               ;   in Loop: Header=BB1_30 Depth=1
	s_bcnt1_i32_b64 s18, s[18:19]
	v_mov_b32_e32 v30, s18
	s_waitcnt vmcnt(0)
	global_atomic_add_x2 v[0:1], v[30:31], off offset:8
.LBB1_100:                              ;   in Loop: Header=BB1_30 Depth=1
	s_or_b64 exec, exec, s[16:17]
	s_waitcnt vmcnt(0)
	global_load_dwordx2 v[2:3], v[0:1], off offset:16
	s_waitcnt vmcnt(0)
	v_cmp_eq_u64_e32 vcc, 0, v[2:3]
	s_cbranch_vccnz .LBB1_102
; %bb.101:                              ;   in Loop: Header=BB1_30 Depth=1
	global_load_dword v30, v[0:1], off offset:24
	s_waitcnt vmcnt(0)
	v_readfirstlane_b32 s16, v30
	s_and_b32 m0, s16, 0xffffff
	global_store_dwordx2 v[2:3], v[30:31], off
	s_sendmsg sendmsg(MSG_INTERRUPT)
.LBB1_102:                              ;   in Loop: Header=BB1_30 Depth=1
	s_or_b64 exec, exec, s[6:7]
	v_add_co_u32_e32 v0, vcc, v26, v35
	v_addc_co_u32_e32 v1, vcc, 0, v27, vcc
	s_branch .LBB1_106
.LBB1_103:                              ;   in Loop: Header=BB1_106 Depth=2
	s_or_b64 exec, exec, s[6:7]
	v_readfirstlane_b32 s6, v2
	s_cmp_eq_u32 s6, 0
	s_cbranch_scc1 .LBB1_105
; %bb.104:                              ;   in Loop: Header=BB1_106 Depth=2
	s_sleep 1
	s_cbranch_execnz .LBB1_106
	s_branch .LBB1_108
.LBB1_105:                              ;   in Loop: Header=BB1_30 Depth=1
	s_branch .LBB1_108
.LBB1_106:                              ;   Parent Loop BB1_30 Depth=1
                                        ; =>  This Inner Loop Header: Depth=2
	v_mov_b32_e32 v2, 1
	s_and_saveexec_b64 s[6:7], s[4:5]
	s_cbranch_execz .LBB1_103
; %bb.107:                              ;   in Loop: Header=BB1_106 Depth=2
	global_load_dword v2, v[32:33], off offset:20 glc
	s_waitcnt vmcnt(0)
	buffer_wbinvl1_vol
	v_and_b32_e32 v2, 1, v2
	s_branch .LBB1_103
.LBB1_108:                              ;   in Loop: Header=BB1_30 Depth=1
	global_load_dwordx2 v[0:1], v[0:1], off
	s_and_saveexec_b64 s[6:7], s[4:5]
	s_cbranch_execz .LBB1_29
; %bb.109:                              ;   in Loop: Header=BB1_30 Depth=1
	global_load_dwordx2 v[2:3], v31, s[10:11] offset:40
	global_load_dwordx2 v[16:17], v31, s[10:11] offset:24 glc
	global_load_dwordx2 v[8:9], v31, s[10:11]
	s_waitcnt vmcnt(2)
	v_readfirstlane_b32 s16, v2
	v_readfirstlane_b32 s17, v3
	s_add_u32 s18, s16, 1
	s_addc_u32 s19, s17, 0
	s_add_u32 s4, s18, s14
	s_addc_u32 s5, s19, s15
	s_cmp_eq_u64 s[4:5], 0
	s_cselect_b32 s5, s19, s5
	s_cselect_b32 s4, s18, s4
	s_and_b64 s[14:15], s[4:5], s[16:17]
	s_mul_i32 s15, s15, 24
	s_mul_hi_u32 s16, s14, 24
	s_mul_i32 s14, s14, 24
	s_add_i32 s15, s16, s15
	v_mov_b32_e32 v3, s15
	s_waitcnt vmcnt(0)
	v_add_co_u32_e32 v2, vcc, s14, v8
	v_addc_co_u32_e32 v3, vcc, v9, v3, vcc
	v_mov_b32_e32 v14, s4
	global_store_dwordx2 v[2:3], v[16:17], off
	v_mov_b32_e32 v15, s5
	s_waitcnt vmcnt(0)
	global_atomic_cmpswap_x2 v[14:15], v31, v[14:17], s[10:11] offset:24 glc
	s_waitcnt vmcnt(0)
	v_cmp_ne_u64_e32 vcc, v[14:15], v[16:17]
	s_and_b64 exec, exec, vcc
	s_cbranch_execz .LBB1_29
; %bb.110:                              ;   in Loop: Header=BB1_30 Depth=1
	s_mov_b64 s[14:15], 0
.LBB1_111:                              ;   Parent Loop BB1_30 Depth=1
                                        ; =>  This Inner Loop Header: Depth=2
	s_sleep 1
	global_store_dwordx2 v[2:3], v[14:15], off
	v_mov_b32_e32 v12, s4
	v_mov_b32_e32 v13, s5
	s_waitcnt vmcnt(0)
	global_atomic_cmpswap_x2 v[8:9], v31, v[12:15], s[10:11] offset:24 glc
	s_waitcnt vmcnt(0)
	v_cmp_eq_u64_e32 vcc, v[8:9], v[14:15]
	v_mov_b32_e32 v15, v9
	s_or_b64 s[14:15], vcc, s[14:15]
	v_mov_b32_e32 v14, v8
	s_andn2_b64 exec, exec, s[14:15]
	s_cbranch_execnz .LBB1_111
	s_branch .LBB1_29
.LBB1_112:
                                        ; implicit-def: $vgpr0_vgpr1
	s_cbranch_execnz .LBB1_114
	s_branch .LBB1_140
.LBB1_113:
	s_or_b64 exec, exec, s[12:13]
	s_branch .LBB1_140
.LBB1_114:
	v_readfirstlane_b32 s4, v34
	v_mov_b32_e32 v9, 0
	v_mov_b32_e32 v10, 0
	v_cmp_eq_u32_e64 s[4:5], s4, v34
	s_and_saveexec_b64 s[6:7], s[4:5]
	s_cbranch_execz .LBB1_120
; %bb.115:
	s_waitcnt vmcnt(0)
	v_mov_b32_e32 v0, 0
	global_load_dwordx2 v[11:12], v0, s[10:11] offset:24 glc
	s_waitcnt vmcnt(0)
	buffer_wbinvl1_vol
	global_load_dwordx2 v[1:2], v0, s[10:11] offset:40
	global_load_dwordx2 v[8:9], v0, s[10:11]
	s_waitcnt vmcnt(1)
	v_and_b32_e32 v1, v1, v11
	v_and_b32_e32 v2, v2, v12
	v_mul_lo_u32 v2, v2, 24
	v_mul_hi_u32 v3, v1, 24
	v_mul_lo_u32 v1, v1, 24
	v_add_u32_e32 v2, v3, v2
	s_waitcnt vmcnt(0)
	v_add_co_u32_e32 v1, vcc, v8, v1
	v_addc_co_u32_e32 v2, vcc, v9, v2, vcc
	global_load_dwordx2 v[9:10], v[1:2], off glc
	s_waitcnt vmcnt(0)
	global_atomic_cmpswap_x2 v[9:10], v0, v[9:12], s[10:11] offset:24 glc
	s_waitcnt vmcnt(0)
	buffer_wbinvl1_vol
	v_cmp_ne_u64_e32 vcc, v[9:10], v[11:12]
	s_and_saveexec_b64 s[12:13], vcc
	s_cbranch_execz .LBB1_119
; %bb.116:
	s_mov_b64 s[14:15], 0
.LBB1_117:                              ; =>This Inner Loop Header: Depth=1
	s_sleep 1
	global_load_dwordx2 v[1:2], v0, s[10:11] offset:40
	global_load_dwordx2 v[13:14], v0, s[10:11]
	v_mov_b32_e32 v12, v10
	v_mov_b32_e32 v11, v9
	s_waitcnt vmcnt(1)
	v_and_b32_e32 v1, v1, v11
	s_waitcnt vmcnt(0)
	v_mad_u64_u32 v[8:9], s[16:17], v1, 24, v[13:14]
	v_and_b32_e32 v2, v2, v12
	v_mov_b32_e32 v1, v9
	v_mad_u64_u32 v[1:2], s[16:17], v2, 24, v[1:2]
	v_mov_b32_e32 v9, v1
	global_load_dwordx2 v[9:10], v[8:9], off glc
	s_waitcnt vmcnt(0)
	global_atomic_cmpswap_x2 v[9:10], v0, v[9:12], s[10:11] offset:24 glc
	s_waitcnt vmcnt(0)
	buffer_wbinvl1_vol
	v_cmp_eq_u64_e32 vcc, v[9:10], v[11:12]
	s_or_b64 s[14:15], vcc, s[14:15]
	s_andn2_b64 exec, exec, s[14:15]
	s_cbranch_execnz .LBB1_117
; %bb.118:
	s_or_b64 exec, exec, s[14:15]
.LBB1_119:
	s_or_b64 exec, exec, s[12:13]
.LBB1_120:
	s_or_b64 exec, exec, s[6:7]
	v_mov_b32_e32 v8, 0
	global_load_dwordx2 v[11:12], v8, s[10:11] offset:40
	global_load_dwordx4 v[0:3], v8, s[10:11]
	v_readfirstlane_b32 s7, v10
	v_readfirstlane_b32 s6, v9
	s_mov_b64 s[12:13], exec
	s_waitcnt vmcnt(1)
	v_readfirstlane_b32 s14, v11
	v_readfirstlane_b32 s15, v12
	s_and_b64 s[14:15], s[14:15], s[6:7]
	s_mul_i32 s16, s15, 24
	s_mul_hi_u32 s17, s14, 24
	s_mul_i32 s18, s14, 24
	s_add_i32 s16, s17, s16
	v_mov_b32_e32 v9, s16
	s_waitcnt vmcnt(0)
	v_add_co_u32_e32 v10, vcc, s18, v0
	v_addc_co_u32_e32 v11, vcc, v1, v9, vcc
	s_and_saveexec_b64 s[16:17], s[4:5]
	s_cbranch_execz .LBB1_122
; %bb.121:
	v_mov_b32_e32 v12, s12
	v_mov_b32_e32 v13, s13
	;; [unrolled: 1-line block ×4, first 2 shown]
	global_store_dwordx4 v[10:11], v[12:15], off offset:8
.LBB1_122:
	s_or_b64 exec, exec, s[16:17]
	s_lshl_b64 s[12:13], s[14:15], 12
	v_mov_b32_e32 v9, s13
	v_add_co_u32_e32 v2, vcc, s12, v2
	v_addc_co_u32_e32 v3, vcc, v3, v9, vcc
	s_movk_i32 s12, 0xff1f
	v_and_or_b32 v6, v6, s12, 32
	s_mov_b32 s12, 0
	v_mov_b32_e32 v9, v8
	v_readfirstlane_b32 s16, v2
	v_readfirstlane_b32 s17, v3
	v_add_co_u32_e32 v12, vcc, v2, v35
	s_mov_b32 s13, s12
	s_mov_b32 s14, s12
	;; [unrolled: 1-line block ×3, first 2 shown]
	s_nop 0
	global_store_dwordx4 v35, v[6:9], s[16:17]
	v_addc_co_u32_e32 v13, vcc, 0, v3, vcc
	v_mov_b32_e32 v6, s12
	v_mov_b32_e32 v7, s13
	;; [unrolled: 1-line block ×4, first 2 shown]
	global_store_dwordx4 v35, v[6:9], s[16:17] offset:16
	global_store_dwordx4 v35, v[6:9], s[16:17] offset:32
	;; [unrolled: 1-line block ×3, first 2 shown]
	s_and_saveexec_b64 s[12:13], s[4:5]
	s_cbranch_execz .LBB1_130
; %bb.123:
	v_mov_b32_e32 v8, 0
	global_load_dwordx2 v[16:17], v8, s[10:11] offset:32 glc
	global_load_dwordx2 v[2:3], v8, s[10:11] offset:40
	v_mov_b32_e32 v14, s6
	v_mov_b32_e32 v15, s7
	s_waitcnt vmcnt(0)
	v_readfirstlane_b32 s14, v2
	v_readfirstlane_b32 s15, v3
	s_and_b64 s[14:15], s[14:15], s[6:7]
	s_mul_i32 s15, s15, 24
	s_mul_hi_u32 s16, s14, 24
	s_mul_i32 s14, s14, 24
	s_add_i32 s15, s16, s15
	v_mov_b32_e32 v2, s15
	v_add_co_u32_e32 v6, vcc, s14, v0
	v_addc_co_u32_e32 v7, vcc, v1, v2, vcc
	global_store_dwordx2 v[6:7], v[16:17], off
	s_waitcnt vmcnt(0)
	global_atomic_cmpswap_x2 v[2:3], v8, v[14:17], s[10:11] offset:32 glc
	s_waitcnt vmcnt(0)
	v_cmp_ne_u64_e32 vcc, v[2:3], v[16:17]
	s_and_saveexec_b64 s[14:15], vcc
	s_cbranch_execz .LBB1_126
; %bb.124:
	s_mov_b64 s[16:17], 0
.LBB1_125:                              ; =>This Inner Loop Header: Depth=1
	s_sleep 1
	global_store_dwordx2 v[6:7], v[2:3], off
	v_mov_b32_e32 v0, s6
	v_mov_b32_e32 v1, s7
	s_waitcnt vmcnt(0)
	global_atomic_cmpswap_x2 v[0:1], v8, v[0:3], s[10:11] offset:32 glc
	s_waitcnt vmcnt(0)
	v_cmp_eq_u64_e32 vcc, v[0:1], v[2:3]
	v_mov_b32_e32 v3, v1
	s_or_b64 s[16:17], vcc, s[16:17]
	v_mov_b32_e32 v2, v0
	s_andn2_b64 exec, exec, s[16:17]
	s_cbranch_execnz .LBB1_125
.LBB1_126:
	s_or_b64 exec, exec, s[14:15]
	v_mov_b32_e32 v3, 0
	global_load_dwordx2 v[0:1], v3, s[10:11] offset:16
	s_mov_b64 s[14:15], exec
	v_mbcnt_lo_u32_b32 v2, s14, 0
	v_mbcnt_hi_u32_b32 v2, s15, v2
	v_cmp_eq_u32_e32 vcc, 0, v2
	s_and_saveexec_b64 s[16:17], vcc
	s_cbranch_execz .LBB1_128
; %bb.127:
	s_bcnt1_i32_b64 s14, s[14:15]
	v_mov_b32_e32 v2, s14
	s_waitcnt vmcnt(0)
	global_atomic_add_x2 v[0:1], v[2:3], off offset:8
.LBB1_128:
	s_or_b64 exec, exec, s[16:17]
	s_waitcnt vmcnt(0)
	global_load_dwordx2 v[2:3], v[0:1], off offset:16
	s_waitcnt vmcnt(0)
	v_cmp_eq_u64_e32 vcc, 0, v[2:3]
	s_cbranch_vccnz .LBB1_130
; %bb.129:
	global_load_dword v0, v[0:1], off offset:24
	v_mov_b32_e32 v1, 0
	s_waitcnt vmcnt(0)
	v_readfirstlane_b32 s14, v0
	s_and_b32 m0, s14, 0xffffff
	global_store_dwordx2 v[2:3], v[0:1], off
	s_sendmsg sendmsg(MSG_INTERRUPT)
.LBB1_130:
	s_or_b64 exec, exec, s[12:13]
	s_branch .LBB1_134
.LBB1_131:                              ;   in Loop: Header=BB1_134 Depth=1
	s_or_b64 exec, exec, s[12:13]
	v_readfirstlane_b32 s12, v0
	s_cmp_eq_u32 s12, 0
	s_cbranch_scc1 .LBB1_133
; %bb.132:                              ;   in Loop: Header=BB1_134 Depth=1
	s_sleep 1
	s_cbranch_execnz .LBB1_134
	s_branch .LBB1_136
.LBB1_133:
	s_branch .LBB1_136
.LBB1_134:                              ; =>This Inner Loop Header: Depth=1
	v_mov_b32_e32 v0, 1
	s_and_saveexec_b64 s[12:13], s[4:5]
	s_cbranch_execz .LBB1_131
; %bb.135:                              ;   in Loop: Header=BB1_134 Depth=1
	global_load_dword v0, v[10:11], off offset:20 glc
	s_waitcnt vmcnt(0)
	buffer_wbinvl1_vol
	v_and_b32_e32 v0, 1, v0
	s_branch .LBB1_131
.LBB1_136:
	global_load_dwordx2 v[0:1], v[12:13], off
	s_and_saveexec_b64 s[12:13], s[4:5]
	s_cbranch_execz .LBB1_139
; %bb.137:
	v_mov_b32_e32 v10, 0
	global_load_dwordx2 v[2:3], v10, s[10:11] offset:40
	global_load_dwordx2 v[13:14], v10, s[10:11] offset:24 glc
	global_load_dwordx2 v[6:7], v10, s[10:11]
	s_waitcnt vmcnt(2)
	v_readfirstlane_b32 s14, v2
	v_readfirstlane_b32 s15, v3
	s_add_u32 s16, s14, 1
	s_addc_u32 s17, s15, 0
	s_add_u32 s4, s16, s6
	s_addc_u32 s5, s17, s7
	s_cmp_eq_u64 s[4:5], 0
	s_cselect_b32 s5, s17, s5
	s_cselect_b32 s4, s16, s4
	s_and_b64 s[6:7], s[4:5], s[14:15]
	s_mul_i32 s7, s7, 24
	s_mul_hi_u32 s14, s6, 24
	s_mul_i32 s6, s6, 24
	s_add_i32 s7, s14, s7
	v_mov_b32_e32 v3, s7
	s_waitcnt vmcnt(0)
	v_add_co_u32_e32 v2, vcc, s6, v6
	v_addc_co_u32_e32 v3, vcc, v7, v3, vcc
	v_mov_b32_e32 v11, s4
	global_store_dwordx2 v[2:3], v[13:14], off
	v_mov_b32_e32 v12, s5
	s_waitcnt vmcnt(0)
	global_atomic_cmpswap_x2 v[8:9], v10, v[11:14], s[10:11] offset:24 glc
	s_mov_b64 s[6:7], 0
	s_waitcnt vmcnt(0)
	v_cmp_ne_u64_e32 vcc, v[8:9], v[13:14]
	s_and_b64 exec, exec, vcc
	s_cbranch_execz .LBB1_139
.LBB1_138:                              ; =>This Inner Loop Header: Depth=1
	s_sleep 1
	global_store_dwordx2 v[2:3], v[8:9], off
	v_mov_b32_e32 v6, s4
	v_mov_b32_e32 v7, s5
	s_waitcnt vmcnt(0)
	global_atomic_cmpswap_x2 v[6:7], v10, v[6:9], s[10:11] offset:24 glc
	s_waitcnt vmcnt(0)
	v_cmp_eq_u64_e32 vcc, v[6:7], v[8:9]
	v_mov_b32_e32 v9, v7
	s_or_b64 s[6:7], vcc, s[6:7]
	v_mov_b32_e32 v8, v6
	s_andn2_b64 exec, exec, s[6:7]
	s_cbranch_execnz .LBB1_138
.LBB1_139:
	s_or_b64 exec, exec, s[12:13]
.LBB1_140:
	s_getpc_b64 s[6:7]
	s_add_u32 s6, s6, .str.4@rel32@lo+4
	s_addc_u32 s7, s7, .str.4@rel32@hi+12
	s_cmp_lg_u64 s[6:7], 0
	s_cbranch_scc0 .LBB1_225
; %bb.141:
	s_getpc_b64 s[4:5]
	s_add_u32 s4, s4, .str.4@rel32@lo+80
	s_addc_u32 s5, s5, .str.4@rel32@hi+88
	s_sub_i32 s12, s4, s6
	s_ashr_i32 s13, s12, 31
	s_waitcnt vmcnt(0)
	v_and_b32_e32 v32, 2, v0
	v_mov_b32_e32 v3, 0
	v_and_b32_e32 v6, -3, v0
	v_mov_b32_e32 v7, v1
	v_mov_b32_e32 v12, 2
	;; [unrolled: 1-line block ×3, first 2 shown]
	s_branch .LBB1_143
.LBB1_142:                              ;   in Loop: Header=BB1_143 Depth=1
	s_or_b64 exec, exec, s[18:19]
	s_sub_u32 s12, s12, s14
	s_subb_u32 s13, s13, s15
	s_add_u32 s6, s6, s14
	s_addc_u32 s7, s7, s15
	s_cmp_lg_u64 s[12:13], 0
	s_cbranch_scc0 .LBB1_226
.LBB1_143:                              ; =>This Loop Header: Depth=1
                                        ;     Child Loop BB1_146 Depth 2
                                        ;     Child Loop BB1_154 Depth 2
                                        ;     Child Loop BB1_162 Depth 2
                                        ;     Child Loop BB1_170 Depth 2
                                        ;     Child Loop BB1_178 Depth 2
                                        ;     Child Loop BB1_186 Depth 2
                                        ;     Child Loop BB1_194 Depth 2
                                        ;     Child Loop BB1_202 Depth 2
                                        ;     Child Loop BB1_210 Depth 2
                                        ;     Child Loop BB1_219 Depth 2
                                        ;     Child Loop BB1_224 Depth 2
	v_cmp_lt_u64_e64 s[4:5], s[12:13], 56
	v_cmp_gt_u64_e64 s[16:17], s[12:13], 7
	s_and_b64 s[4:5], s[4:5], exec
	s_cselect_b32 s15, s13, 0
	s_cselect_b32 s14, s12, 56
	s_add_u32 s4, s6, 8
	s_addc_u32 s5, s7, 0
	s_and_b64 vcc, exec, s[16:17]
	s_cbranch_vccnz .LBB1_147
; %bb.144:                              ;   in Loop: Header=BB1_143 Depth=1
	s_cmp_eq_u64 s[12:13], 0
	s_cbranch_scc1 .LBB1_148
; %bb.145:                              ;   in Loop: Header=BB1_143 Depth=1
	v_mov_b32_e32 v8, 0
	s_lshl_b64 s[4:5], s[14:15], 3
	s_mov_b64 s[16:17], 0
	v_mov_b32_e32 v9, 0
	s_mov_b64 s[18:19], s[6:7]
.LBB1_146:                              ;   Parent Loop BB1_143 Depth=1
                                        ; =>  This Inner Loop Header: Depth=2
	global_load_ubyte v2, v3, s[18:19]
	s_waitcnt vmcnt(0)
	v_and_b32_e32 v2, 0xffff, v2
	v_lshlrev_b64 v[10:11], s16, v[2:3]
	s_add_u32 s16, s16, 8
	s_addc_u32 s17, s17, 0
	s_add_u32 s18, s18, 1
	s_addc_u32 s19, s19, 0
	v_or_b32_e32 v8, v10, v8
	s_cmp_lg_u32 s4, s16
	v_or_b32_e32 v9, v11, v9
	s_cbranch_scc1 .LBB1_146
	s_branch .LBB1_149
.LBB1_147:                              ;   in Loop: Header=BB1_143 Depth=1
	s_mov_b32 s20, 0
	s_branch .LBB1_150
.LBB1_148:                              ;   in Loop: Header=BB1_143 Depth=1
	v_mov_b32_e32 v8, 0
	v_mov_b32_e32 v9, 0
.LBB1_149:                              ;   in Loop: Header=BB1_143 Depth=1
	s_mov_b64 s[4:5], s[6:7]
	s_mov_b32 s20, 0
	s_cbranch_execnz .LBB1_151
.LBB1_150:                              ;   in Loop: Header=BB1_143 Depth=1
	global_load_dwordx2 v[8:9], v3, s[6:7]
	s_add_i32 s20, s14, -8
.LBB1_151:                              ;   in Loop: Header=BB1_143 Depth=1
	s_add_u32 s16, s4, 8
	s_addc_u32 s17, s5, 0
	s_cmp_gt_u32 s20, 7
	s_cbranch_scc1 .LBB1_155
; %bb.152:                              ;   in Loop: Header=BB1_143 Depth=1
	s_cmp_eq_u32 s20, 0
	s_cbranch_scc1 .LBB1_156
; %bb.153:                              ;   in Loop: Header=BB1_143 Depth=1
	v_mov_b32_e32 v14, 0
	s_mov_b64 s[16:17], 0
	v_mov_b32_e32 v15, 0
	s_mov_b64 s[18:19], 0
.LBB1_154:                              ;   Parent Loop BB1_143 Depth=1
                                        ; =>  This Inner Loop Header: Depth=2
	s_add_u32 s22, s4, s18
	s_addc_u32 s23, s5, s19
	global_load_ubyte v2, v3, s[22:23]
	s_add_u32 s18, s18, 1
	s_addc_u32 s19, s19, 0
	s_waitcnt vmcnt(0)
	v_and_b32_e32 v2, 0xffff, v2
	v_lshlrev_b64 v[10:11], s16, v[2:3]
	s_add_u32 s16, s16, 8
	s_addc_u32 s17, s17, 0
	v_or_b32_e32 v14, v10, v14
	s_cmp_lg_u32 s20, s18
	v_or_b32_e32 v15, v11, v15
	s_cbranch_scc1 .LBB1_154
	s_branch .LBB1_157
.LBB1_155:                              ;   in Loop: Header=BB1_143 Depth=1
                                        ; implicit-def: $vgpr14_vgpr15
	s_mov_b32 s21, 0
	s_branch .LBB1_158
.LBB1_156:                              ;   in Loop: Header=BB1_143 Depth=1
	v_mov_b32_e32 v14, 0
	v_mov_b32_e32 v15, 0
.LBB1_157:                              ;   in Loop: Header=BB1_143 Depth=1
	s_mov_b64 s[16:17], s[4:5]
	s_mov_b32 s21, 0
	s_cbranch_execnz .LBB1_159
.LBB1_158:                              ;   in Loop: Header=BB1_143 Depth=1
	global_load_dwordx2 v[14:15], v3, s[4:5]
	s_add_i32 s21, s20, -8
.LBB1_159:                              ;   in Loop: Header=BB1_143 Depth=1
	s_add_u32 s4, s16, 8
	s_addc_u32 s5, s17, 0
	s_cmp_gt_u32 s21, 7
	s_cbranch_scc1 .LBB1_163
; %bb.160:                              ;   in Loop: Header=BB1_143 Depth=1
	s_cmp_eq_u32 s21, 0
	s_cbranch_scc1 .LBB1_164
; %bb.161:                              ;   in Loop: Header=BB1_143 Depth=1
	v_mov_b32_e32 v16, 0
	s_mov_b64 s[4:5], 0
	v_mov_b32_e32 v17, 0
	s_mov_b64 s[18:19], 0
.LBB1_162:                              ;   Parent Loop BB1_143 Depth=1
                                        ; =>  This Inner Loop Header: Depth=2
	s_add_u32 s22, s16, s18
	s_addc_u32 s23, s17, s19
	global_load_ubyte v2, v3, s[22:23]
	s_add_u32 s18, s18, 1
	s_addc_u32 s19, s19, 0
	s_waitcnt vmcnt(0)
	v_and_b32_e32 v2, 0xffff, v2
	v_lshlrev_b64 v[10:11], s4, v[2:3]
	s_add_u32 s4, s4, 8
	s_addc_u32 s5, s5, 0
	v_or_b32_e32 v16, v10, v16
	s_cmp_lg_u32 s21, s18
	v_or_b32_e32 v17, v11, v17
	s_cbranch_scc1 .LBB1_162
	s_branch .LBB1_165
.LBB1_163:                              ;   in Loop: Header=BB1_143 Depth=1
	s_mov_b32 s20, 0
	s_branch .LBB1_166
.LBB1_164:                              ;   in Loop: Header=BB1_143 Depth=1
	v_mov_b32_e32 v16, 0
	v_mov_b32_e32 v17, 0
.LBB1_165:                              ;   in Loop: Header=BB1_143 Depth=1
	s_mov_b64 s[4:5], s[16:17]
	s_mov_b32 s20, 0
	s_cbranch_execnz .LBB1_167
.LBB1_166:                              ;   in Loop: Header=BB1_143 Depth=1
	global_load_dwordx2 v[16:17], v3, s[16:17]
	s_add_i32 s20, s21, -8
.LBB1_167:                              ;   in Loop: Header=BB1_143 Depth=1
	s_add_u32 s16, s4, 8
	s_addc_u32 s17, s5, 0
	s_cmp_gt_u32 s20, 7
	s_cbranch_scc1 .LBB1_171
; %bb.168:                              ;   in Loop: Header=BB1_143 Depth=1
	s_cmp_eq_u32 s20, 0
	s_cbranch_scc1 .LBB1_172
; %bb.169:                              ;   in Loop: Header=BB1_143 Depth=1
	v_mov_b32_e32 v18, 0
	s_mov_b64 s[16:17], 0
	v_mov_b32_e32 v19, 0
	s_mov_b64 s[18:19], 0
.LBB1_170:                              ;   Parent Loop BB1_143 Depth=1
                                        ; =>  This Inner Loop Header: Depth=2
	s_add_u32 s22, s4, s18
	s_addc_u32 s23, s5, s19
	global_load_ubyte v2, v3, s[22:23]
	s_add_u32 s18, s18, 1
	s_addc_u32 s19, s19, 0
	s_waitcnt vmcnt(0)
	v_and_b32_e32 v2, 0xffff, v2
	v_lshlrev_b64 v[10:11], s16, v[2:3]
	s_add_u32 s16, s16, 8
	s_addc_u32 s17, s17, 0
	v_or_b32_e32 v18, v10, v18
	s_cmp_lg_u32 s20, s18
	v_or_b32_e32 v19, v11, v19
	s_cbranch_scc1 .LBB1_170
	s_branch .LBB1_173
.LBB1_171:                              ;   in Loop: Header=BB1_143 Depth=1
                                        ; implicit-def: $vgpr18_vgpr19
	s_mov_b32 s21, 0
	s_branch .LBB1_174
.LBB1_172:                              ;   in Loop: Header=BB1_143 Depth=1
	v_mov_b32_e32 v18, 0
	v_mov_b32_e32 v19, 0
.LBB1_173:                              ;   in Loop: Header=BB1_143 Depth=1
	s_mov_b64 s[16:17], s[4:5]
	s_mov_b32 s21, 0
	s_cbranch_execnz .LBB1_175
.LBB1_174:                              ;   in Loop: Header=BB1_143 Depth=1
	global_load_dwordx2 v[18:19], v3, s[4:5]
	s_add_i32 s21, s20, -8
.LBB1_175:                              ;   in Loop: Header=BB1_143 Depth=1
	s_add_u32 s4, s16, 8
	s_addc_u32 s5, s17, 0
	s_cmp_gt_u32 s21, 7
	s_cbranch_scc1 .LBB1_179
; %bb.176:                              ;   in Loop: Header=BB1_143 Depth=1
	s_cmp_eq_u32 s21, 0
	s_cbranch_scc1 .LBB1_180
; %bb.177:                              ;   in Loop: Header=BB1_143 Depth=1
	v_mov_b32_e32 v20, 0
	s_mov_b64 s[4:5], 0
	v_mov_b32_e32 v21, 0
	s_mov_b64 s[18:19], 0
.LBB1_178:                              ;   Parent Loop BB1_143 Depth=1
                                        ; =>  This Inner Loop Header: Depth=2
	s_add_u32 s22, s16, s18
	s_addc_u32 s23, s17, s19
	global_load_ubyte v2, v3, s[22:23]
	s_add_u32 s18, s18, 1
	s_addc_u32 s19, s19, 0
	s_waitcnt vmcnt(0)
	v_and_b32_e32 v2, 0xffff, v2
	v_lshlrev_b64 v[10:11], s4, v[2:3]
	s_add_u32 s4, s4, 8
	s_addc_u32 s5, s5, 0
	v_or_b32_e32 v20, v10, v20
	s_cmp_lg_u32 s21, s18
	v_or_b32_e32 v21, v11, v21
	s_cbranch_scc1 .LBB1_178
	s_branch .LBB1_181
.LBB1_179:                              ;   in Loop: Header=BB1_143 Depth=1
	s_mov_b32 s20, 0
	s_branch .LBB1_182
.LBB1_180:                              ;   in Loop: Header=BB1_143 Depth=1
	v_mov_b32_e32 v20, 0
	v_mov_b32_e32 v21, 0
.LBB1_181:                              ;   in Loop: Header=BB1_143 Depth=1
	s_mov_b64 s[4:5], s[16:17]
	s_mov_b32 s20, 0
	s_cbranch_execnz .LBB1_183
.LBB1_182:                              ;   in Loop: Header=BB1_143 Depth=1
	global_load_dwordx2 v[20:21], v3, s[16:17]
	s_add_i32 s20, s21, -8
.LBB1_183:                              ;   in Loop: Header=BB1_143 Depth=1
	s_add_u32 s16, s4, 8
	s_addc_u32 s17, s5, 0
	s_cmp_gt_u32 s20, 7
	s_cbranch_scc1 .LBB1_187
; %bb.184:                              ;   in Loop: Header=BB1_143 Depth=1
	s_cmp_eq_u32 s20, 0
	s_cbranch_scc1 .LBB1_188
; %bb.185:                              ;   in Loop: Header=BB1_143 Depth=1
	v_mov_b32_e32 v22, 0
	s_mov_b64 s[16:17], 0
	v_mov_b32_e32 v23, 0
	s_mov_b64 s[18:19], 0
.LBB1_186:                              ;   Parent Loop BB1_143 Depth=1
                                        ; =>  This Inner Loop Header: Depth=2
	s_add_u32 s22, s4, s18
	s_addc_u32 s23, s5, s19
	global_load_ubyte v2, v3, s[22:23]
	s_add_u32 s18, s18, 1
	s_addc_u32 s19, s19, 0
	s_waitcnt vmcnt(0)
	v_and_b32_e32 v2, 0xffff, v2
	v_lshlrev_b64 v[10:11], s16, v[2:3]
	s_add_u32 s16, s16, 8
	s_addc_u32 s17, s17, 0
	v_or_b32_e32 v22, v10, v22
	s_cmp_lg_u32 s20, s18
	v_or_b32_e32 v23, v11, v23
	s_cbranch_scc1 .LBB1_186
	s_branch .LBB1_189
.LBB1_187:                              ;   in Loop: Header=BB1_143 Depth=1
                                        ; implicit-def: $vgpr22_vgpr23
	s_mov_b32 s21, 0
	s_branch .LBB1_190
.LBB1_188:                              ;   in Loop: Header=BB1_143 Depth=1
	v_mov_b32_e32 v22, 0
	v_mov_b32_e32 v23, 0
.LBB1_189:                              ;   in Loop: Header=BB1_143 Depth=1
	s_mov_b64 s[16:17], s[4:5]
	s_mov_b32 s21, 0
	s_cbranch_execnz .LBB1_191
.LBB1_190:                              ;   in Loop: Header=BB1_143 Depth=1
	global_load_dwordx2 v[22:23], v3, s[4:5]
	s_add_i32 s21, s20, -8
.LBB1_191:                              ;   in Loop: Header=BB1_143 Depth=1
	s_cmp_gt_u32 s21, 7
	s_cbranch_scc1 .LBB1_195
; %bb.192:                              ;   in Loop: Header=BB1_143 Depth=1
	s_cmp_eq_u32 s21, 0
	s_cbranch_scc1 .LBB1_196
; %bb.193:                              ;   in Loop: Header=BB1_143 Depth=1
	v_mov_b32_e32 v24, 0
	s_mov_b64 s[4:5], 0
	v_mov_b32_e32 v25, 0
	s_mov_b64 s[18:19], s[16:17]
.LBB1_194:                              ;   Parent Loop BB1_143 Depth=1
                                        ; =>  This Inner Loop Header: Depth=2
	global_load_ubyte v2, v3, s[18:19]
	s_add_i32 s21, s21, -1
	s_waitcnt vmcnt(0)
	v_and_b32_e32 v2, 0xffff, v2
	v_lshlrev_b64 v[10:11], s4, v[2:3]
	s_add_u32 s4, s4, 8
	s_addc_u32 s5, s5, 0
	s_add_u32 s18, s18, 1
	s_addc_u32 s19, s19, 0
	v_or_b32_e32 v24, v10, v24
	s_cmp_lg_u32 s21, 0
	v_or_b32_e32 v25, v11, v25
	s_cbranch_scc1 .LBB1_194
	s_branch .LBB1_197
.LBB1_195:                              ;   in Loop: Header=BB1_143 Depth=1
	s_branch .LBB1_198
.LBB1_196:                              ;   in Loop: Header=BB1_143 Depth=1
	v_mov_b32_e32 v24, 0
	v_mov_b32_e32 v25, 0
.LBB1_197:                              ;   in Loop: Header=BB1_143 Depth=1
	s_cbranch_execnz .LBB1_199
.LBB1_198:                              ;   in Loop: Header=BB1_143 Depth=1
	global_load_dwordx2 v[24:25], v3, s[16:17]
.LBB1_199:                              ;   in Loop: Header=BB1_143 Depth=1
	v_readfirstlane_b32 s4, v34
	v_mov_b32_e32 v10, 0
	v_mov_b32_e32 v11, 0
	v_cmp_eq_u32_e64 s[4:5], s4, v34
	s_and_saveexec_b64 s[16:17], s[4:5]
	s_cbranch_execz .LBB1_205
; %bb.200:                              ;   in Loop: Header=BB1_143 Depth=1
	global_load_dwordx2 v[28:29], v3, s[10:11] offset:24 glc
	s_waitcnt vmcnt(0)
	buffer_wbinvl1_vol
	global_load_dwordx2 v[10:11], v3, s[10:11] offset:40
	global_load_dwordx2 v[26:27], v3, s[10:11]
	s_waitcnt vmcnt(1)
	v_and_b32_e32 v2, v10, v28
	v_and_b32_e32 v10, v11, v29
	v_mul_lo_u32 v10, v10, 24
	v_mul_hi_u32 v11, v2, 24
	v_mul_lo_u32 v2, v2, 24
	v_add_u32_e32 v11, v11, v10
	s_waitcnt vmcnt(0)
	v_add_co_u32_e32 v10, vcc, v26, v2
	v_addc_co_u32_e32 v11, vcc, v27, v11, vcc
	global_load_dwordx2 v[26:27], v[10:11], off glc
	s_waitcnt vmcnt(0)
	global_atomic_cmpswap_x2 v[10:11], v3, v[26:29], s[10:11] offset:24 glc
	s_waitcnt vmcnt(0)
	buffer_wbinvl1_vol
	v_cmp_ne_u64_e32 vcc, v[10:11], v[28:29]
	s_and_saveexec_b64 s[18:19], vcc
	s_cbranch_execz .LBB1_204
; %bb.201:                              ;   in Loop: Header=BB1_143 Depth=1
	s_mov_b64 s[20:21], 0
.LBB1_202:                              ;   Parent Loop BB1_143 Depth=1
                                        ; =>  This Inner Loop Header: Depth=2
	s_sleep 1
	global_load_dwordx2 v[26:27], v3, s[10:11] offset:40
	global_load_dwordx2 v[30:31], v3, s[10:11]
	v_mov_b32_e32 v29, v11
	v_mov_b32_e32 v28, v10
	s_waitcnt vmcnt(1)
	v_and_b32_e32 v2, v26, v28
	s_waitcnt vmcnt(0)
	v_mad_u64_u32 v[10:11], s[22:23], v2, 24, v[30:31]
	v_and_b32_e32 v26, v27, v29
	v_mov_b32_e32 v2, v11
	v_mad_u64_u32 v[26:27], s[22:23], v26, 24, v[2:3]
	v_mov_b32_e32 v11, v26
	global_load_dwordx2 v[26:27], v[10:11], off glc
	s_waitcnt vmcnt(0)
	global_atomic_cmpswap_x2 v[10:11], v3, v[26:29], s[10:11] offset:24 glc
	s_waitcnt vmcnt(0)
	buffer_wbinvl1_vol
	v_cmp_eq_u64_e32 vcc, v[10:11], v[28:29]
	s_or_b64 s[20:21], vcc, s[20:21]
	s_andn2_b64 exec, exec, s[20:21]
	s_cbranch_execnz .LBB1_202
; %bb.203:                              ;   in Loop: Header=BB1_143 Depth=1
	s_or_b64 exec, exec, s[20:21]
.LBB1_204:                              ;   in Loop: Header=BB1_143 Depth=1
	s_or_b64 exec, exec, s[18:19]
.LBB1_205:                              ;   in Loop: Header=BB1_143 Depth=1
	s_or_b64 exec, exec, s[16:17]
	global_load_dwordx2 v[30:31], v3, s[10:11] offset:40
	global_load_dwordx4 v[26:29], v3, s[10:11]
	v_readfirstlane_b32 s17, v11
	v_readfirstlane_b32 s16, v10
	s_mov_b64 s[18:19], exec
	s_waitcnt vmcnt(1)
	v_readfirstlane_b32 s20, v30
	v_readfirstlane_b32 s21, v31
	s_and_b64 s[20:21], s[20:21], s[16:17]
	s_mul_i32 s22, s21, 24
	s_mul_hi_u32 s23, s20, 24
	s_mul_i32 s24, s20, 24
	s_add_i32 s22, s23, s22
	v_mov_b32_e32 v2, s22
	s_waitcnt vmcnt(0)
	v_add_co_u32_e32 v30, vcc, s24, v26
	v_addc_co_u32_e32 v31, vcc, v27, v2, vcc
	s_and_saveexec_b64 s[22:23], s[4:5]
	s_cbranch_execz .LBB1_207
; %bb.206:                              ;   in Loop: Header=BB1_143 Depth=1
	v_mov_b32_e32 v10, s18
	v_mov_b32_e32 v11, s19
	global_store_dwordx4 v[30:31], v[10:13], off offset:8
.LBB1_207:                              ;   in Loop: Header=BB1_143 Depth=1
	s_or_b64 exec, exec, s[22:23]
	s_lshl_b64 s[18:19], s[20:21], 12
	v_mov_b32_e32 v2, s19
	v_add_co_u32_e32 v28, vcc, s18, v28
	v_addc_co_u32_e32 v29, vcc, v29, v2, vcc
	v_cmp_lt_u64_e64 vcc, s[12:13], 57
	s_lshl_b32 s18, s14, 2
	v_cndmask_b32_e32 v2, 0, v32, vcc
	s_add_i32 s18, s18, 28
	v_and_b32_e32 v6, 0xffffff1f, v6
	s_and_b32 s18, s18, 0x1e0
	v_or_b32_e32 v2, v6, v2
	v_or_b32_e32 v6, s18, v2
	v_readfirstlane_b32 s18, v28
	v_readfirstlane_b32 s19, v29
	s_nop 4
	global_store_dwordx4 v35, v[6:9], s[18:19]
	global_store_dwordx4 v35, v[14:17], s[18:19] offset:16
	global_store_dwordx4 v35, v[18:21], s[18:19] offset:32
	;; [unrolled: 1-line block ×3, first 2 shown]
	s_and_saveexec_b64 s[18:19], s[4:5]
	s_cbranch_execz .LBB1_215
; %bb.208:                              ;   in Loop: Header=BB1_143 Depth=1
	global_load_dwordx2 v[16:17], v3, s[10:11] offset:32 glc
	global_load_dwordx2 v[6:7], v3, s[10:11] offset:40
	v_mov_b32_e32 v14, s16
	v_mov_b32_e32 v15, s17
	s_waitcnt vmcnt(0)
	v_readfirstlane_b32 s20, v6
	v_readfirstlane_b32 s21, v7
	s_and_b64 s[20:21], s[20:21], s[16:17]
	s_mul_i32 s21, s21, 24
	s_mul_hi_u32 s22, s20, 24
	s_mul_i32 s20, s20, 24
	s_add_i32 s21, s22, s21
	v_mov_b32_e32 v2, s21
	v_add_co_u32_e32 v10, vcc, s20, v26
	v_addc_co_u32_e32 v11, vcc, v27, v2, vcc
	global_store_dwordx2 v[10:11], v[16:17], off
	s_waitcnt vmcnt(0)
	global_atomic_cmpswap_x2 v[8:9], v3, v[14:17], s[10:11] offset:32 glc
	s_waitcnt vmcnt(0)
	v_cmp_ne_u64_e32 vcc, v[8:9], v[16:17]
	s_and_saveexec_b64 s[20:21], vcc
	s_cbranch_execz .LBB1_211
; %bb.209:                              ;   in Loop: Header=BB1_143 Depth=1
	s_mov_b64 s[22:23], 0
.LBB1_210:                              ;   Parent Loop BB1_143 Depth=1
                                        ; =>  This Inner Loop Header: Depth=2
	s_sleep 1
	global_store_dwordx2 v[10:11], v[8:9], off
	v_mov_b32_e32 v6, s16
	v_mov_b32_e32 v7, s17
	s_waitcnt vmcnt(0)
	global_atomic_cmpswap_x2 v[6:7], v3, v[6:9], s[10:11] offset:32 glc
	s_waitcnt vmcnt(0)
	v_cmp_eq_u64_e32 vcc, v[6:7], v[8:9]
	v_mov_b32_e32 v9, v7
	s_or_b64 s[22:23], vcc, s[22:23]
	v_mov_b32_e32 v8, v6
	s_andn2_b64 exec, exec, s[22:23]
	s_cbranch_execnz .LBB1_210
.LBB1_211:                              ;   in Loop: Header=BB1_143 Depth=1
	s_or_b64 exec, exec, s[20:21]
	global_load_dwordx2 v[6:7], v3, s[10:11] offset:16
	s_mov_b64 s[22:23], exec
	v_mbcnt_lo_u32_b32 v2, s22, 0
	v_mbcnt_hi_u32_b32 v2, s23, v2
	v_cmp_eq_u32_e32 vcc, 0, v2
	s_and_saveexec_b64 s[20:21], vcc
	s_cbranch_execz .LBB1_213
; %bb.212:                              ;   in Loop: Header=BB1_143 Depth=1
	s_bcnt1_i32_b64 s22, s[22:23]
	v_mov_b32_e32 v2, s22
	s_waitcnt vmcnt(0)
	global_atomic_add_x2 v[6:7], v[2:3], off offset:8
.LBB1_213:                              ;   in Loop: Header=BB1_143 Depth=1
	s_or_b64 exec, exec, s[20:21]
	s_waitcnt vmcnt(0)
	global_load_dwordx2 v[8:9], v[6:7], off offset:16
	s_waitcnt vmcnt(0)
	v_cmp_eq_u64_e32 vcc, 0, v[8:9]
	s_cbranch_vccnz .LBB1_215
; %bb.214:                              ;   in Loop: Header=BB1_143 Depth=1
	global_load_dword v2, v[6:7], off offset:24
	s_waitcnt vmcnt(0)
	v_readfirstlane_b32 s20, v2
	s_and_b32 m0, s20, 0xffffff
	global_store_dwordx2 v[8:9], v[2:3], off
	s_sendmsg sendmsg(MSG_INTERRUPT)
.LBB1_215:                              ;   in Loop: Header=BB1_143 Depth=1
	s_or_b64 exec, exec, s[18:19]
	v_add_co_u32_e32 v6, vcc, v28, v35
	v_addc_co_u32_e32 v7, vcc, 0, v29, vcc
	s_branch .LBB1_219
.LBB1_216:                              ;   in Loop: Header=BB1_219 Depth=2
	s_or_b64 exec, exec, s[18:19]
	v_readfirstlane_b32 s18, v2
	s_cmp_eq_u32 s18, 0
	s_cbranch_scc1 .LBB1_218
; %bb.217:                              ;   in Loop: Header=BB1_219 Depth=2
	s_sleep 1
	s_cbranch_execnz .LBB1_219
	s_branch .LBB1_221
.LBB1_218:                              ;   in Loop: Header=BB1_143 Depth=1
	s_branch .LBB1_221
.LBB1_219:                              ;   Parent Loop BB1_143 Depth=1
                                        ; =>  This Inner Loop Header: Depth=2
	v_mov_b32_e32 v2, 1
	s_and_saveexec_b64 s[18:19], s[4:5]
	s_cbranch_execz .LBB1_216
; %bb.220:                              ;   in Loop: Header=BB1_219 Depth=2
	global_load_dword v2, v[30:31], off offset:20 glc
	s_waitcnt vmcnt(0)
	buffer_wbinvl1_vol
	v_and_b32_e32 v2, 1, v2
	s_branch .LBB1_216
.LBB1_221:                              ;   in Loop: Header=BB1_143 Depth=1
	global_load_dwordx2 v[6:7], v[6:7], off
	s_and_saveexec_b64 s[18:19], s[4:5]
	s_cbranch_execz .LBB1_142
; %bb.222:                              ;   in Loop: Header=BB1_143 Depth=1
	global_load_dwordx2 v[8:9], v3, s[10:11] offset:40
	global_load_dwordx2 v[18:19], v3, s[10:11] offset:24 glc
	global_load_dwordx2 v[10:11], v3, s[10:11]
	s_waitcnt vmcnt(2)
	v_readfirstlane_b32 s20, v8
	v_readfirstlane_b32 s21, v9
	s_add_u32 s22, s20, 1
	s_addc_u32 s23, s21, 0
	s_add_u32 s4, s22, s16
	s_addc_u32 s5, s23, s17
	s_cmp_eq_u64 s[4:5], 0
	s_cselect_b32 s5, s23, s5
	s_cselect_b32 s4, s22, s4
	s_and_b64 s[16:17], s[4:5], s[20:21]
	s_mul_i32 s17, s17, 24
	s_mul_hi_u32 s20, s16, 24
	s_mul_i32 s16, s16, 24
	s_add_i32 s17, s20, s17
	v_mov_b32_e32 v2, s17
	s_waitcnt vmcnt(0)
	v_add_co_u32_e32 v14, vcc, s16, v10
	v_addc_co_u32_e32 v15, vcc, v11, v2, vcc
	v_mov_b32_e32 v16, s4
	global_store_dwordx2 v[14:15], v[18:19], off
	v_mov_b32_e32 v17, s5
	s_waitcnt vmcnt(0)
	global_atomic_cmpswap_x2 v[10:11], v3, v[16:19], s[10:11] offset:24 glc
	s_waitcnt vmcnt(0)
	v_cmp_ne_u64_e32 vcc, v[10:11], v[18:19]
	s_and_b64 exec, exec, vcc
	s_cbranch_execz .LBB1_142
; %bb.223:                              ;   in Loop: Header=BB1_143 Depth=1
	s_mov_b64 s[16:17], 0
.LBB1_224:                              ;   Parent Loop BB1_143 Depth=1
                                        ; =>  This Inner Loop Header: Depth=2
	s_sleep 1
	global_store_dwordx2 v[14:15], v[10:11], off
	v_mov_b32_e32 v8, s4
	v_mov_b32_e32 v9, s5
	s_waitcnt vmcnt(0)
	global_atomic_cmpswap_x2 v[8:9], v3, v[8:11], s[10:11] offset:24 glc
	s_waitcnt vmcnt(0)
	v_cmp_eq_u64_e32 vcc, v[8:9], v[10:11]
	v_mov_b32_e32 v11, v9
	s_or_b64 s[16:17], vcc, s[16:17]
	v_mov_b32_e32 v10, v8
	s_andn2_b64 exec, exec, s[16:17]
	s_cbranch_execnz .LBB1_224
	s_branch .LBB1_142
.LBB1_225:
                                        ; implicit-def: $vgpr6_vgpr7
	s_cbranch_execnz .LBB1_227
	s_branch .LBB1_253
.LBB1_226:
	s_branch .LBB1_253
.LBB1_227:
	v_readfirstlane_b32 s4, v34
	v_mov_b32_e32 v10, 0
	v_mov_b32_e32 v11, 0
	v_cmp_eq_u32_e64 s[4:5], s4, v34
	s_and_saveexec_b64 s[6:7], s[4:5]
	s_cbranch_execz .LBB1_233
; %bb.228:
	v_mov_b32_e32 v2, 0
	global_load_dwordx2 v[8:9], v2, s[10:11] offset:24 glc
	s_waitcnt vmcnt(0)
	buffer_wbinvl1_vol
	global_load_dwordx2 v[6:7], v2, s[10:11] offset:40
	global_load_dwordx2 v[10:11], v2, s[10:11]
	s_waitcnt vmcnt(1)
	v_and_b32_e32 v3, v6, v8
	v_and_b32_e32 v6, v7, v9
	v_mul_lo_u32 v6, v6, 24
	v_mul_hi_u32 v7, v3, 24
	v_mul_lo_u32 v3, v3, 24
	v_add_u32_e32 v7, v7, v6
	s_waitcnt vmcnt(0)
	v_add_co_u32_e32 v6, vcc, v10, v3
	v_addc_co_u32_e32 v7, vcc, v11, v7, vcc
	global_load_dwordx2 v[6:7], v[6:7], off glc
	s_waitcnt vmcnt(0)
	global_atomic_cmpswap_x2 v[10:11], v2, v[6:9], s[10:11] offset:24 glc
	s_waitcnt vmcnt(0)
	buffer_wbinvl1_vol
	v_cmp_ne_u64_e32 vcc, v[10:11], v[8:9]
	s_and_saveexec_b64 s[12:13], vcc
	s_cbranch_execz .LBB1_232
; %bb.229:
	s_mov_b64 s[14:15], 0
.LBB1_230:                              ; =>This Inner Loop Header: Depth=1
	s_sleep 1
	global_load_dwordx2 v[6:7], v2, s[10:11] offset:40
	global_load_dwordx2 v[12:13], v2, s[10:11]
	v_mov_b32_e32 v8, v10
	v_mov_b32_e32 v9, v11
	s_waitcnt vmcnt(1)
	v_and_b32_e32 v3, v6, v8
	s_waitcnt vmcnt(0)
	v_mad_u64_u32 v[10:11], s[16:17], v3, 24, v[12:13]
	v_and_b32_e32 v6, v7, v9
	v_mov_b32_e32 v3, v11
	v_mad_u64_u32 v[6:7], s[16:17], v6, 24, v[3:4]
	v_mov_b32_e32 v11, v6
	global_load_dwordx2 v[6:7], v[10:11], off glc
	s_waitcnt vmcnt(0)
	global_atomic_cmpswap_x2 v[10:11], v2, v[6:9], s[10:11] offset:24 glc
	s_waitcnt vmcnt(0)
	buffer_wbinvl1_vol
	v_cmp_eq_u64_e32 vcc, v[10:11], v[8:9]
	s_or_b64 s[14:15], vcc, s[14:15]
	s_andn2_b64 exec, exec, s[14:15]
	s_cbranch_execnz .LBB1_230
; %bb.231:
	s_or_b64 exec, exec, s[14:15]
.LBB1_232:
	s_or_b64 exec, exec, s[12:13]
.LBB1_233:
	s_or_b64 exec, exec, s[6:7]
	v_mov_b32_e32 v2, 0
	global_load_dwordx2 v[12:13], v2, s[10:11] offset:40
	global_load_dwordx4 v[6:9], v2, s[10:11]
	v_readfirstlane_b32 s7, v11
	v_readfirstlane_b32 s6, v10
	s_mov_b64 s[12:13], exec
	s_waitcnt vmcnt(1)
	v_readfirstlane_b32 s14, v12
	v_readfirstlane_b32 s15, v13
	s_and_b64 s[14:15], s[14:15], s[6:7]
	s_mul_i32 s16, s15, 24
	s_mul_hi_u32 s17, s14, 24
	s_mul_i32 s18, s14, 24
	s_add_i32 s16, s17, s16
	v_mov_b32_e32 v3, s16
	s_waitcnt vmcnt(0)
	v_add_co_u32_e32 v10, vcc, s18, v6
	v_addc_co_u32_e32 v11, vcc, v7, v3, vcc
	s_and_saveexec_b64 s[16:17], s[4:5]
	s_cbranch_execz .LBB1_235
; %bb.234:
	v_mov_b32_e32 v12, s12
	v_mov_b32_e32 v13, s13
	v_mov_b32_e32 v14, 2
	v_mov_b32_e32 v15, 1
	global_store_dwordx4 v[10:11], v[12:15], off offset:8
.LBB1_235:
	s_or_b64 exec, exec, s[16:17]
	s_lshl_b64 s[12:13], s[14:15], 12
	v_mov_b32_e32 v3, s13
	v_add_co_u32_e32 v12, vcc, s12, v8
	v_addc_co_u32_e32 v13, vcc, v9, v3, vcc
	s_movk_i32 s12, 0xff1f
	v_and_or_b32 v0, v0, s12, 32
	s_mov_b32 s12, 0
	v_mov_b32_e32 v3, v2
	v_readfirstlane_b32 s16, v12
	v_readfirstlane_b32 s17, v13
	v_add_co_u32_e32 v8, vcc, v12, v35
	s_mov_b32 s13, s12
	s_mov_b32 s14, s12
	;; [unrolled: 1-line block ×3, first 2 shown]
	s_nop 0
	global_store_dwordx4 v35, v[0:3], s[16:17]
	v_addc_co_u32_e32 v9, vcc, 0, v13, vcc
	v_mov_b32_e32 v0, s12
	v_mov_b32_e32 v1, s13
	;; [unrolled: 1-line block ×4, first 2 shown]
	global_store_dwordx4 v35, v[0:3], s[16:17] offset:16
	global_store_dwordx4 v35, v[0:3], s[16:17] offset:32
	;; [unrolled: 1-line block ×3, first 2 shown]
	s_and_saveexec_b64 s[12:13], s[4:5]
	s_cbranch_execz .LBB1_243
; %bb.236:
	v_mov_b32_e32 v12, 0
	global_load_dwordx2 v[15:16], v12, s[10:11] offset:32 glc
	global_load_dwordx2 v[0:1], v12, s[10:11] offset:40
	v_mov_b32_e32 v13, s6
	v_mov_b32_e32 v14, s7
	s_waitcnt vmcnt(0)
	v_readfirstlane_b32 s14, v0
	v_readfirstlane_b32 s15, v1
	s_and_b64 s[14:15], s[14:15], s[6:7]
	s_mul_i32 s15, s15, 24
	s_mul_hi_u32 s16, s14, 24
	s_mul_i32 s14, s14, 24
	s_add_i32 s15, s16, s15
	v_mov_b32_e32 v0, s15
	v_add_co_u32_e32 v6, vcc, s14, v6
	v_addc_co_u32_e32 v7, vcc, v7, v0, vcc
	global_store_dwordx2 v[6:7], v[15:16], off
	s_waitcnt vmcnt(0)
	global_atomic_cmpswap_x2 v[2:3], v12, v[13:16], s[10:11] offset:32 glc
	s_waitcnt vmcnt(0)
	v_cmp_ne_u64_e32 vcc, v[2:3], v[15:16]
	s_and_saveexec_b64 s[14:15], vcc
	s_cbranch_execz .LBB1_239
; %bb.237:
	s_mov_b64 s[16:17], 0
.LBB1_238:                              ; =>This Inner Loop Header: Depth=1
	s_sleep 1
	global_store_dwordx2 v[6:7], v[2:3], off
	v_mov_b32_e32 v0, s6
	v_mov_b32_e32 v1, s7
	s_waitcnt vmcnt(0)
	global_atomic_cmpswap_x2 v[0:1], v12, v[0:3], s[10:11] offset:32 glc
	s_waitcnt vmcnt(0)
	v_cmp_eq_u64_e32 vcc, v[0:1], v[2:3]
	v_mov_b32_e32 v3, v1
	s_or_b64 s[16:17], vcc, s[16:17]
	v_mov_b32_e32 v2, v0
	s_andn2_b64 exec, exec, s[16:17]
	s_cbranch_execnz .LBB1_238
.LBB1_239:
	s_or_b64 exec, exec, s[14:15]
	v_mov_b32_e32 v3, 0
	global_load_dwordx2 v[0:1], v3, s[10:11] offset:16
	s_mov_b64 s[14:15], exec
	v_mbcnt_lo_u32_b32 v2, s14, 0
	v_mbcnt_hi_u32_b32 v2, s15, v2
	v_cmp_eq_u32_e32 vcc, 0, v2
	s_and_saveexec_b64 s[16:17], vcc
	s_cbranch_execz .LBB1_241
; %bb.240:
	s_bcnt1_i32_b64 s14, s[14:15]
	v_mov_b32_e32 v2, s14
	s_waitcnt vmcnt(0)
	global_atomic_add_x2 v[0:1], v[2:3], off offset:8
.LBB1_241:
	s_or_b64 exec, exec, s[16:17]
	s_waitcnt vmcnt(0)
	global_load_dwordx2 v[2:3], v[0:1], off offset:16
	s_waitcnt vmcnt(0)
	v_cmp_eq_u64_e32 vcc, 0, v[2:3]
	s_cbranch_vccnz .LBB1_243
; %bb.242:
	global_load_dword v0, v[0:1], off offset:24
	v_mov_b32_e32 v1, 0
	s_waitcnt vmcnt(0)
	v_readfirstlane_b32 s14, v0
	s_and_b32 m0, s14, 0xffffff
	global_store_dwordx2 v[2:3], v[0:1], off
	s_sendmsg sendmsg(MSG_INTERRUPT)
.LBB1_243:
	s_or_b64 exec, exec, s[12:13]
	s_branch .LBB1_247
.LBB1_244:                              ;   in Loop: Header=BB1_247 Depth=1
	s_or_b64 exec, exec, s[12:13]
	v_readfirstlane_b32 s12, v0
	s_cmp_eq_u32 s12, 0
	s_cbranch_scc1 .LBB1_246
; %bb.245:                              ;   in Loop: Header=BB1_247 Depth=1
	s_sleep 1
	s_cbranch_execnz .LBB1_247
	s_branch .LBB1_249
.LBB1_246:
	s_branch .LBB1_249
.LBB1_247:                              ; =>This Inner Loop Header: Depth=1
	v_mov_b32_e32 v0, 1
	s_and_saveexec_b64 s[12:13], s[4:5]
	s_cbranch_execz .LBB1_244
; %bb.248:                              ;   in Loop: Header=BB1_247 Depth=1
	global_load_dword v0, v[10:11], off offset:20 glc
	s_waitcnt vmcnt(0)
	buffer_wbinvl1_vol
	v_and_b32_e32 v0, 1, v0
	s_branch .LBB1_244
.LBB1_249:
	global_load_dwordx2 v[6:7], v[8:9], off
	s_and_saveexec_b64 s[12:13], s[4:5]
	s_cbranch_execz .LBB1_252
; %bb.250:
	v_mov_b32_e32 v10, 0
	global_load_dwordx2 v[0:1], v10, s[10:11] offset:40
	global_load_dwordx2 v[13:14], v10, s[10:11] offset:24 glc
	global_load_dwordx2 v[2:3], v10, s[10:11]
	s_waitcnt vmcnt(2)
	v_readfirstlane_b32 s14, v0
	v_readfirstlane_b32 s15, v1
	s_add_u32 s16, s14, 1
	s_addc_u32 s17, s15, 0
	s_add_u32 s4, s16, s6
	s_addc_u32 s5, s17, s7
	s_cmp_eq_u64 s[4:5], 0
	s_cselect_b32 s5, s17, s5
	s_cselect_b32 s4, s16, s4
	s_and_b64 s[6:7], s[4:5], s[14:15]
	s_mul_i32 s7, s7, 24
	s_mul_hi_u32 s14, s6, 24
	s_mul_i32 s6, s6, 24
	s_add_i32 s7, s14, s7
	v_mov_b32_e32 v0, s7
	s_waitcnt vmcnt(0)
	v_add_co_u32_e32 v8, vcc, s6, v2
	v_addc_co_u32_e32 v9, vcc, v3, v0, vcc
	v_mov_b32_e32 v11, s4
	global_store_dwordx2 v[8:9], v[13:14], off
	v_mov_b32_e32 v12, s5
	s_waitcnt vmcnt(0)
	global_atomic_cmpswap_x2 v[2:3], v10, v[11:14], s[10:11] offset:24 glc
	s_mov_b64 s[6:7], 0
	s_waitcnt vmcnt(0)
	v_cmp_ne_u64_e32 vcc, v[2:3], v[13:14]
	s_and_b64 exec, exec, vcc
	s_cbranch_execz .LBB1_252
.LBB1_251:                              ; =>This Inner Loop Header: Depth=1
	s_sleep 1
	global_store_dwordx2 v[8:9], v[2:3], off
	v_mov_b32_e32 v0, s4
	v_mov_b32_e32 v1, s5
	s_waitcnt vmcnt(0)
	global_atomic_cmpswap_x2 v[0:1], v10, v[0:3], s[10:11] offset:24 glc
	s_waitcnt vmcnt(0)
	v_cmp_eq_u64_e32 vcc, v[0:1], v[2:3]
	v_mov_b32_e32 v3, v1
	s_or_b64 s[6:7], vcc, s[6:7]
	v_mov_b32_e32 v2, v0
	s_andn2_b64 exec, exec, s[6:7]
	s_cbranch_execnz .LBB1_251
.LBB1_252:
	s_or_b64 exec, exec, s[12:13]
.LBB1_253:
	v_readfirstlane_b32 s4, v34
	v_mov_b32_e32 v10, 0
	v_mov_b32_e32 v11, 0
	v_cmp_eq_u32_e64 s[4:5], s4, v34
	s_and_saveexec_b64 s[6:7], s[4:5]
	s_cbranch_execz .LBB1_259
; %bb.254:
	s_waitcnt vmcnt(0)
	v_mov_b32_e32 v0, 0
	global_load_dwordx2 v[12:13], v0, s[10:11] offset:24 glc
	s_waitcnt vmcnt(0)
	buffer_wbinvl1_vol
	global_load_dwordx2 v[1:2], v0, s[10:11] offset:40
	global_load_dwordx2 v[8:9], v0, s[10:11]
	s_waitcnt vmcnt(1)
	v_and_b32_e32 v1, v1, v12
	v_and_b32_e32 v2, v2, v13
	v_mul_lo_u32 v2, v2, 24
	v_mul_hi_u32 v3, v1, 24
	v_mul_lo_u32 v1, v1, 24
	v_add_u32_e32 v2, v3, v2
	s_waitcnt vmcnt(0)
	v_add_co_u32_e32 v1, vcc, v8, v1
	v_addc_co_u32_e32 v2, vcc, v9, v2, vcc
	global_load_dwordx2 v[10:11], v[1:2], off glc
	s_waitcnt vmcnt(0)
	global_atomic_cmpswap_x2 v[10:11], v0, v[10:13], s[10:11] offset:24 glc
	s_waitcnt vmcnt(0)
	buffer_wbinvl1_vol
	v_cmp_ne_u64_e32 vcc, v[10:11], v[12:13]
	s_and_saveexec_b64 s[12:13], vcc
	s_cbranch_execz .LBB1_258
; %bb.255:
	s_mov_b64 s[14:15], 0
.LBB1_256:                              ; =>This Inner Loop Header: Depth=1
	s_sleep 1
	global_load_dwordx2 v[1:2], v0, s[10:11] offset:40
	global_load_dwordx2 v[8:9], v0, s[10:11]
	v_mov_b32_e32 v13, v11
	v_mov_b32_e32 v12, v10
	s_waitcnt vmcnt(1)
	v_and_b32_e32 v1, v1, v12
	s_waitcnt vmcnt(0)
	v_mad_u64_u32 v[8:9], s[16:17], v1, 24, v[8:9]
	v_and_b32_e32 v2, v2, v13
	v_mov_b32_e32 v1, v9
	v_mad_u64_u32 v[1:2], s[16:17], v2, 24, v[1:2]
	v_mov_b32_e32 v9, v1
	global_load_dwordx2 v[10:11], v[8:9], off glc
	s_waitcnt vmcnt(0)
	global_atomic_cmpswap_x2 v[10:11], v0, v[10:13], s[10:11] offset:24 glc
	s_waitcnt vmcnt(0)
	buffer_wbinvl1_vol
	v_cmp_eq_u64_e32 vcc, v[10:11], v[12:13]
	s_or_b64 s[14:15], vcc, s[14:15]
	s_andn2_b64 exec, exec, s[14:15]
	s_cbranch_execnz .LBB1_256
; %bb.257:
	s_or_b64 exec, exec, s[14:15]
.LBB1_258:
	s_or_b64 exec, exec, s[12:13]
.LBB1_259:
	s_or_b64 exec, exec, s[6:7]
	v_mov_b32_e32 v9, 0
	global_load_dwordx2 v[12:13], v9, s[10:11] offset:40
	global_load_dwordx4 v[0:3], v9, s[10:11]
	v_readfirstlane_b32 s7, v11
	v_readfirstlane_b32 s6, v10
	s_mov_b64 s[12:13], exec
	s_waitcnt vmcnt(1)
	v_readfirstlane_b32 s14, v12
	v_readfirstlane_b32 s15, v13
	s_and_b64 s[14:15], s[14:15], s[6:7]
	s_mul_i32 s16, s15, 24
	s_mul_hi_u32 s17, s14, 24
	s_mul_i32 s18, s14, 24
	s_add_i32 s16, s17, s16
	v_mov_b32_e32 v8, s16
	s_waitcnt vmcnt(0)
	v_add_co_u32_e32 v10, vcc, s18, v0
	v_addc_co_u32_e32 v11, vcc, v1, v8, vcc
	s_and_saveexec_b64 s[16:17], s[4:5]
	s_cbranch_execz .LBB1_261
; %bb.260:
	v_mov_b32_e32 v12, s12
	v_mov_b32_e32 v13, s13
	v_mov_b32_e32 v14, 2
	v_mov_b32_e32 v15, 1
	global_store_dwordx4 v[10:11], v[12:15], off offset:8
.LBB1_261:
	s_or_b64 exec, exec, s[16:17]
	s_lshl_b64 s[12:13], s[14:15], 12
	v_mov_b32_e32 v8, s13
	v_add_co_u32_e32 v2, vcc, s12, v2
	v_addc_co_u32_e32 v3, vcc, v3, v8, vcc
	s_movk_i32 s12, 0xff1f
	v_and_or_b32 v6, v6, s12, 32
	s_mov_b32 s12, 0
	v_mov_b32_e32 v8, 0x331
	v_readfirstlane_b32 s16, v2
	v_readfirstlane_b32 s17, v3
	v_add_co_u32_e32 v12, vcc, v2, v35
	s_mov_b32 s13, s12
	s_mov_b32 s14, s12
	;; [unrolled: 1-line block ×3, first 2 shown]
	s_nop 0
	global_store_dwordx4 v35, v[6:9], s[16:17]
	v_addc_co_u32_e32 v13, vcc, 0, v3, vcc
	v_mov_b32_e32 v6, s12
	v_mov_b32_e32 v7, s13
	;; [unrolled: 1-line block ×4, first 2 shown]
	global_store_dwordx4 v35, v[6:9], s[16:17] offset:16
	global_store_dwordx4 v35, v[6:9], s[16:17] offset:32
	;; [unrolled: 1-line block ×3, first 2 shown]
	s_and_saveexec_b64 s[12:13], s[4:5]
	s_cbranch_execz .LBB1_269
; %bb.262:
	v_mov_b32_e32 v8, 0
	global_load_dwordx2 v[16:17], v8, s[10:11] offset:32 glc
	global_load_dwordx2 v[2:3], v8, s[10:11] offset:40
	v_mov_b32_e32 v14, s6
	v_mov_b32_e32 v15, s7
	s_waitcnt vmcnt(0)
	v_readfirstlane_b32 s14, v2
	v_readfirstlane_b32 s15, v3
	s_and_b64 s[14:15], s[14:15], s[6:7]
	s_mul_i32 s15, s15, 24
	s_mul_hi_u32 s16, s14, 24
	s_mul_i32 s14, s14, 24
	s_add_i32 s15, s16, s15
	v_mov_b32_e32 v2, s15
	v_add_co_u32_e32 v6, vcc, s14, v0
	v_addc_co_u32_e32 v7, vcc, v1, v2, vcc
	global_store_dwordx2 v[6:7], v[16:17], off
	s_waitcnt vmcnt(0)
	global_atomic_cmpswap_x2 v[2:3], v8, v[14:17], s[10:11] offset:32 glc
	s_waitcnt vmcnt(0)
	v_cmp_ne_u64_e32 vcc, v[2:3], v[16:17]
	s_and_saveexec_b64 s[14:15], vcc
	s_cbranch_execz .LBB1_265
; %bb.263:
	s_mov_b64 s[16:17], 0
.LBB1_264:                              ; =>This Inner Loop Header: Depth=1
	s_sleep 1
	global_store_dwordx2 v[6:7], v[2:3], off
	v_mov_b32_e32 v0, s6
	v_mov_b32_e32 v1, s7
	s_waitcnt vmcnt(0)
	global_atomic_cmpswap_x2 v[0:1], v8, v[0:3], s[10:11] offset:32 glc
	s_waitcnt vmcnt(0)
	v_cmp_eq_u64_e32 vcc, v[0:1], v[2:3]
	v_mov_b32_e32 v3, v1
	s_or_b64 s[16:17], vcc, s[16:17]
	v_mov_b32_e32 v2, v0
	s_andn2_b64 exec, exec, s[16:17]
	s_cbranch_execnz .LBB1_264
.LBB1_265:
	s_or_b64 exec, exec, s[14:15]
	v_mov_b32_e32 v3, 0
	global_load_dwordx2 v[0:1], v3, s[10:11] offset:16
	s_mov_b64 s[14:15], exec
	v_mbcnt_lo_u32_b32 v2, s14, 0
	v_mbcnt_hi_u32_b32 v2, s15, v2
	v_cmp_eq_u32_e32 vcc, 0, v2
	s_and_saveexec_b64 s[16:17], vcc
	s_cbranch_execz .LBB1_267
; %bb.266:
	s_bcnt1_i32_b64 s14, s[14:15]
	v_mov_b32_e32 v2, s14
	s_waitcnt vmcnt(0)
	global_atomic_add_x2 v[0:1], v[2:3], off offset:8
.LBB1_267:
	s_or_b64 exec, exec, s[16:17]
	s_waitcnt vmcnt(0)
	global_load_dwordx2 v[2:3], v[0:1], off offset:16
	s_waitcnt vmcnt(0)
	v_cmp_eq_u64_e32 vcc, 0, v[2:3]
	s_cbranch_vccnz .LBB1_269
; %bb.268:
	global_load_dword v0, v[0:1], off offset:24
	v_mov_b32_e32 v1, 0
	s_waitcnt vmcnt(0)
	v_readfirstlane_b32 s14, v0
	s_and_b32 m0, s14, 0xffffff
	global_store_dwordx2 v[2:3], v[0:1], off
	s_sendmsg sendmsg(MSG_INTERRUPT)
.LBB1_269:
	s_or_b64 exec, exec, s[12:13]
	s_branch .LBB1_273
.LBB1_270:                              ;   in Loop: Header=BB1_273 Depth=1
	s_or_b64 exec, exec, s[12:13]
	v_readfirstlane_b32 s12, v0
	s_cmp_eq_u32 s12, 0
	s_cbranch_scc1 .LBB1_272
; %bb.271:                              ;   in Loop: Header=BB1_273 Depth=1
	s_sleep 1
	s_cbranch_execnz .LBB1_273
	s_branch .LBB1_275
.LBB1_272:
	s_branch .LBB1_275
.LBB1_273:                              ; =>This Inner Loop Header: Depth=1
	v_mov_b32_e32 v0, 1
	s_and_saveexec_b64 s[12:13], s[4:5]
	s_cbranch_execz .LBB1_270
; %bb.274:                              ;   in Loop: Header=BB1_273 Depth=1
	global_load_dword v0, v[10:11], off offset:20 glc
	s_waitcnt vmcnt(0)
	buffer_wbinvl1_vol
	v_and_b32_e32 v0, 1, v0
	s_branch .LBB1_270
.LBB1_275:
	global_load_dwordx2 v[0:1], v[12:13], off
	s_and_saveexec_b64 s[12:13], s[4:5]
	s_cbranch_execz .LBB1_278
; %bb.276:
	v_mov_b32_e32 v10, 0
	global_load_dwordx2 v[2:3], v10, s[10:11] offset:40
	global_load_dwordx2 v[13:14], v10, s[10:11] offset:24 glc
	global_load_dwordx2 v[6:7], v10, s[10:11]
	s_waitcnt vmcnt(2)
	v_readfirstlane_b32 s14, v2
	v_readfirstlane_b32 s15, v3
	s_add_u32 s16, s14, 1
	s_addc_u32 s17, s15, 0
	s_add_u32 s4, s16, s6
	s_addc_u32 s5, s17, s7
	s_cmp_eq_u64 s[4:5], 0
	s_cselect_b32 s5, s17, s5
	s_cselect_b32 s4, s16, s4
	s_and_b64 s[6:7], s[4:5], s[14:15]
	s_mul_i32 s7, s7, 24
	s_mul_hi_u32 s14, s6, 24
	s_mul_i32 s6, s6, 24
	s_add_i32 s7, s14, s7
	v_mov_b32_e32 v3, s7
	s_waitcnt vmcnt(0)
	v_add_co_u32_e32 v2, vcc, s6, v6
	v_addc_co_u32_e32 v3, vcc, v7, v3, vcc
	v_mov_b32_e32 v11, s4
	global_store_dwordx2 v[2:3], v[13:14], off
	v_mov_b32_e32 v12, s5
	s_waitcnt vmcnt(0)
	global_atomic_cmpswap_x2 v[8:9], v10, v[11:14], s[10:11] offset:24 glc
	s_mov_b64 s[6:7], 0
	s_waitcnt vmcnt(0)
	v_cmp_ne_u64_e32 vcc, v[8:9], v[13:14]
	s_and_b64 exec, exec, vcc
	s_cbranch_execz .LBB1_278
.LBB1_277:                              ; =>This Inner Loop Header: Depth=1
	s_sleep 1
	global_store_dwordx2 v[2:3], v[8:9], off
	v_mov_b32_e32 v6, s4
	v_mov_b32_e32 v7, s5
	s_waitcnt vmcnt(0)
	global_atomic_cmpswap_x2 v[6:7], v10, v[6:9], s[10:11] offset:24 glc
	s_waitcnt vmcnt(0)
	v_cmp_eq_u64_e32 vcc, v[6:7], v[8:9]
	v_mov_b32_e32 v9, v7
	s_or_b64 s[6:7], vcc, s[6:7]
	v_mov_b32_e32 v8, v6
	s_andn2_b64 exec, exec, s[6:7]
	s_cbranch_execnz .LBB1_277
.LBB1_278:
	s_or_b64 exec, exec, s[12:13]
	v_mov_b32_e32 v7, v5
	s_mov_b64 s[4:5], 0
	v_mov_b32_e32 v6, v4
.LBB1_279:                              ; =>This Inner Loop Header: Depth=1
	global_load_ubyte v8, v[6:7], off
	v_add_co_u32_e32 v2, vcc, 1, v6
	v_addc_co_u32_e32 v3, vcc, 0, v7, vcc
	v_mov_b32_e32 v7, v3
	v_mov_b32_e32 v6, v2
	s_waitcnt vmcnt(0)
	v_cmp_eq_u16_e32 vcc, 0, v8
	s_or_b64 s[4:5], vcc, s[4:5]
	s_andn2_b64 exec, exec, s[4:5]
	s_cbranch_execnz .LBB1_279
; %bb.280:
	s_or_b64 exec, exec, s[4:5]
	v_cmp_ne_u64_e32 vcc, 0, v[4:5]
	s_mov_b64 s[12:13], 0
	s_and_saveexec_b64 s[4:5], vcc
	s_xor_b64 s[6:7], exec, s[4:5]
	s_cbranch_execz .LBB1_366
; %bb.281:
	v_sub_u32_e32 v26, v2, v4
	v_ashrrev_i32_e32 v27, 31, v26
	v_and_b32_e32 v36, 2, v0
	v_mov_b32_e32 v29, 0
	v_and_b32_e32 v0, -3, v0
	s_mov_b32 s22, 0
	s_movk_i32 s23, 0x1e0
	v_mov_b32_e32 v8, 2
	v_mov_b32_e32 v9, 1
	s_branch .LBB1_283
.LBB1_282:                              ;   in Loop: Header=BB1_283 Depth=1
	s_or_b64 exec, exec, s[16:17]
	v_sub_co_u32_e32 v26, vcc, v26, v30
	v_subb_co_u32_e32 v27, vcc, v27, v31, vcc
	v_cmp_eq_u64_e32 vcc, 0, v[26:27]
	s_or_b64 s[12:13], vcc, s[12:13]
	v_add_co_u32_e32 v4, vcc, v4, v30
	v_addc_co_u32_e32 v5, vcc, v5, v31, vcc
	s_andn2_b64 exec, exec, s[12:13]
	s_cbranch_execz .LBB1_365
.LBB1_283:                              ; =>This Loop Header: Depth=1
                                        ;     Child Loop BB1_286 Depth 2
                                        ;     Child Loop BB1_294 Depth 2
	;; [unrolled: 1-line block ×11, first 2 shown]
	v_cmp_gt_u64_e32 vcc, 56, v[26:27]
	v_add_co_u32_e64 v12, s[4:5], 8, v4
	v_cndmask_b32_e32 v31, 0, v27, vcc
	v_cndmask_b32_e32 v30, 56, v26, vcc
	v_cmp_gt_u64_e32 vcc, 8, v[26:27]
	v_addc_co_u32_e64 v13, s[4:5], 0, v5, s[4:5]
	s_and_saveexec_b64 s[4:5], vcc
	s_xor_b64 s[4:5], exec, s[4:5]
	s_cbranch_execz .LBB1_289
; %bb.284:                              ;   in Loop: Header=BB1_283 Depth=1
	v_mov_b32_e32 v2, 0
	v_cmp_ne_u64_e32 vcc, 0, v[26:27]
	v_mov_b32_e32 v3, 0
	s_and_saveexec_b64 s[14:15], vcc
	s_cbranch_execz .LBB1_288
; %bb.285:                              ;   in Loop: Header=BB1_283 Depth=1
	v_lshlrev_b64 v[6:7], 3, v[30:31]
	v_mov_b32_e32 v2, 0
	v_mov_b32_e32 v11, v5
	s_mov_b64 s[16:17], 0
	v_mov_b32_e32 v3, 0
	v_mov_b32_e32 v10, v4
	s_mov_b64 s[18:19], 0
.LBB1_286:                              ;   Parent Loop BB1_283 Depth=1
                                        ; =>  This Inner Loop Header: Depth=2
	global_load_ubyte v7, v[10:11], off
	v_mov_b32_e32 v13, s22
	v_add_co_u32_e32 v10, vcc, 1, v10
	v_addc_co_u32_e32 v11, vcc, 0, v11, vcc
	s_waitcnt vmcnt(0)
	v_and_b32_e32 v12, 0xffff, v7
	v_lshlrev_b64 v[12:13], s18, v[12:13]
	s_add_u32 s18, s18, 8
	s_addc_u32 s19, s19, 0
	v_cmp_eq_u32_e32 vcc, s18, v6
	v_or_b32_e32 v3, v13, v3
	s_or_b64 s[16:17], vcc, s[16:17]
	v_or_b32_e32 v2, v12, v2
	s_andn2_b64 exec, exec, s[16:17]
	s_cbranch_execnz .LBB1_286
; %bb.287:                              ;   in Loop: Header=BB1_283 Depth=1
	s_or_b64 exec, exec, s[16:17]
.LBB1_288:                              ;   in Loop: Header=BB1_283 Depth=1
	s_or_b64 exec, exec, s[14:15]
	v_mov_b32_e32 v13, v5
	v_mov_b32_e32 v12, v4
.LBB1_289:                              ;   in Loop: Header=BB1_283 Depth=1
	s_or_saveexec_b64 s[4:5], s[4:5]
	v_mov_b32_e32 v14, 0
	s_xor_b64 exec, exec, s[4:5]
	s_cbranch_execz .LBB1_291
; %bb.290:                              ;   in Loop: Header=BB1_283 Depth=1
	global_load_dwordx2 v[2:3], v[4:5], off
	v_add_u32_e32 v14, -8, v30
.LBB1_291:                              ;   in Loop: Header=BB1_283 Depth=1
	s_or_b64 exec, exec, s[4:5]
	v_add_co_u32_e64 v6, s[4:5], 8, v12
	v_cmp_gt_u32_e32 vcc, 8, v14
	v_addc_co_u32_e64 v7, s[4:5], 0, v13, s[4:5]
                                        ; implicit-def: $vgpr10_vgpr11
	s_and_saveexec_b64 s[4:5], vcc
	s_xor_b64 s[4:5], exec, s[4:5]
	s_cbranch_execz .LBB1_297
; %bb.292:                              ;   in Loop: Header=BB1_283 Depth=1
	v_mov_b32_e32 v10, 0
	v_mov_b32_e32 v11, 0
	v_cmp_ne_u32_e32 vcc, 0, v14
	s_and_saveexec_b64 s[14:15], vcc
	s_cbranch_execz .LBB1_296
; %bb.293:                              ;   in Loop: Header=BB1_283 Depth=1
	v_mov_b32_e32 v10, 0
	s_mov_b64 s[16:17], 0
	v_mov_b32_e32 v11, 0
	s_mov_b64 s[18:19], 0
	s_mov_b64 s[20:21], 0
.LBB1_294:                              ;   Parent Loop BB1_283 Depth=1
                                        ; =>  This Inner Loop Header: Depth=2
	v_mov_b32_e32 v7, s21
	v_add_co_u32_e32 v6, vcc, s20, v12
	v_addc_co_u32_e32 v7, vcc, v13, v7, vcc
	global_load_ubyte v6, v[6:7], off
	s_add_u32 s20, s20, 1
	v_mov_b32_e32 v7, s22
	s_addc_u32 s21, s21, 0
	v_cmp_eq_u32_e32 vcc, s20, v14
	s_waitcnt vmcnt(0)
	v_and_b32_e32 v6, 0xffff, v6
	v_lshlrev_b64 v[6:7], s18, v[6:7]
	s_add_u32 s18, s18, 8
	s_addc_u32 s19, s19, 0
	v_or_b32_e32 v11, v7, v11
	s_or_b64 s[16:17], vcc, s[16:17]
	v_or_b32_e32 v10, v6, v10
	s_andn2_b64 exec, exec, s[16:17]
	s_cbranch_execnz .LBB1_294
; %bb.295:                              ;   in Loop: Header=BB1_283 Depth=1
	s_or_b64 exec, exec, s[16:17]
.LBB1_296:                              ;   in Loop: Header=BB1_283 Depth=1
	s_or_b64 exec, exec, s[14:15]
	v_mov_b32_e32 v6, v12
	v_mov_b32_e32 v7, v13
                                        ; implicit-def: $vgpr14
.LBB1_297:                              ;   in Loop: Header=BB1_283 Depth=1
	s_or_saveexec_b64 s[4:5], s[4:5]
	v_mov_b32_e32 v15, 0
	s_xor_b64 exec, exec, s[4:5]
	s_cbranch_execz .LBB1_299
; %bb.298:                              ;   in Loop: Header=BB1_283 Depth=1
	global_load_dwordx2 v[10:11], v[12:13], off
	v_add_u32_e32 v15, -8, v14
.LBB1_299:                              ;   in Loop: Header=BB1_283 Depth=1
	s_or_b64 exec, exec, s[4:5]
	v_add_co_u32_e64 v16, s[4:5], 8, v6
	v_cmp_gt_u32_e32 vcc, 8, v15
	v_addc_co_u32_e64 v17, s[4:5], 0, v7, s[4:5]
	s_and_saveexec_b64 s[4:5], vcc
	s_xor_b64 s[4:5], exec, s[4:5]
	s_cbranch_execz .LBB1_305
; %bb.300:                              ;   in Loop: Header=BB1_283 Depth=1
	v_mov_b32_e32 v12, 0
	v_mov_b32_e32 v13, 0
	v_cmp_ne_u32_e32 vcc, 0, v15
	s_and_saveexec_b64 s[14:15], vcc
	s_cbranch_execz .LBB1_304
; %bb.301:                              ;   in Loop: Header=BB1_283 Depth=1
	v_mov_b32_e32 v12, 0
	s_mov_b64 s[16:17], 0
	v_mov_b32_e32 v13, 0
	s_mov_b64 s[18:19], 0
	s_mov_b64 s[20:21], 0
.LBB1_302:                              ;   Parent Loop BB1_283 Depth=1
                                        ; =>  This Inner Loop Header: Depth=2
	v_mov_b32_e32 v14, s21
	v_add_co_u32_e32 v16, vcc, s20, v6
	v_addc_co_u32_e32 v17, vcc, v7, v14, vcc
	global_load_ubyte v14, v[16:17], off
	s_add_u32 s20, s20, 1
	v_mov_b32_e32 v17, s22
	s_addc_u32 s21, s21, 0
	v_cmp_eq_u32_e32 vcc, s20, v15
	s_waitcnt vmcnt(0)
	v_and_b32_e32 v16, 0xffff, v14
	v_lshlrev_b64 v[16:17], s18, v[16:17]
	s_add_u32 s18, s18, 8
	s_addc_u32 s19, s19, 0
	v_or_b32_e32 v13, v17, v13
	s_or_b64 s[16:17], vcc, s[16:17]
	v_or_b32_e32 v12, v16, v12
	s_andn2_b64 exec, exec, s[16:17]
	s_cbranch_execnz .LBB1_302
; %bb.303:                              ;   in Loop: Header=BB1_283 Depth=1
	s_or_b64 exec, exec, s[16:17]
.LBB1_304:                              ;   in Loop: Header=BB1_283 Depth=1
	s_or_b64 exec, exec, s[14:15]
	v_mov_b32_e32 v17, v7
	v_mov_b32_e32 v16, v6
                                        ; implicit-def: $vgpr15
.LBB1_305:                              ;   in Loop: Header=BB1_283 Depth=1
	s_or_saveexec_b64 s[4:5], s[4:5]
	v_mov_b32_e32 v18, 0
	s_xor_b64 exec, exec, s[4:5]
	s_cbranch_execz .LBB1_307
; %bb.306:                              ;   in Loop: Header=BB1_283 Depth=1
	global_load_dwordx2 v[12:13], v[6:7], off
	v_add_u32_e32 v18, -8, v15
.LBB1_307:                              ;   in Loop: Header=BB1_283 Depth=1
	s_or_b64 exec, exec, s[4:5]
	v_add_co_u32_e64 v6, s[4:5], 8, v16
	v_cmp_gt_u32_e32 vcc, 8, v18
	v_addc_co_u32_e64 v7, s[4:5], 0, v17, s[4:5]
                                        ; implicit-def: $vgpr14_vgpr15
	s_and_saveexec_b64 s[4:5], vcc
	s_xor_b64 s[4:5], exec, s[4:5]
	s_cbranch_execz .LBB1_313
; %bb.308:                              ;   in Loop: Header=BB1_283 Depth=1
	v_mov_b32_e32 v14, 0
	v_mov_b32_e32 v15, 0
	v_cmp_ne_u32_e32 vcc, 0, v18
	s_and_saveexec_b64 s[14:15], vcc
	s_cbranch_execz .LBB1_312
; %bb.309:                              ;   in Loop: Header=BB1_283 Depth=1
	v_mov_b32_e32 v14, 0
	s_mov_b64 s[16:17], 0
	v_mov_b32_e32 v15, 0
	s_mov_b64 s[18:19], 0
	s_mov_b64 s[20:21], 0
.LBB1_310:                              ;   Parent Loop BB1_283 Depth=1
                                        ; =>  This Inner Loop Header: Depth=2
	v_mov_b32_e32 v7, s21
	v_add_co_u32_e32 v6, vcc, s20, v16
	v_addc_co_u32_e32 v7, vcc, v17, v7, vcc
	global_load_ubyte v6, v[6:7], off
	s_add_u32 s20, s20, 1
	v_mov_b32_e32 v7, s22
	s_addc_u32 s21, s21, 0
	v_cmp_eq_u32_e32 vcc, s20, v18
	s_waitcnt vmcnt(0)
	v_and_b32_e32 v6, 0xffff, v6
	v_lshlrev_b64 v[6:7], s18, v[6:7]
	s_add_u32 s18, s18, 8
	s_addc_u32 s19, s19, 0
	v_or_b32_e32 v15, v7, v15
	s_or_b64 s[16:17], vcc, s[16:17]
	v_or_b32_e32 v14, v6, v14
	s_andn2_b64 exec, exec, s[16:17]
	s_cbranch_execnz .LBB1_310
; %bb.311:                              ;   in Loop: Header=BB1_283 Depth=1
	s_or_b64 exec, exec, s[16:17]
.LBB1_312:                              ;   in Loop: Header=BB1_283 Depth=1
	s_or_b64 exec, exec, s[14:15]
	v_mov_b32_e32 v6, v16
	v_mov_b32_e32 v7, v17
                                        ; implicit-def: $vgpr18
.LBB1_313:                              ;   in Loop: Header=BB1_283 Depth=1
	s_or_saveexec_b64 s[4:5], s[4:5]
	v_mov_b32_e32 v19, 0
	s_xor_b64 exec, exec, s[4:5]
	s_cbranch_execz .LBB1_315
; %bb.314:                              ;   in Loop: Header=BB1_283 Depth=1
	global_load_dwordx2 v[14:15], v[16:17], off
	v_add_u32_e32 v19, -8, v18
.LBB1_315:                              ;   in Loop: Header=BB1_283 Depth=1
	s_or_b64 exec, exec, s[4:5]
	v_add_co_u32_e64 v20, s[4:5], 8, v6
	v_cmp_gt_u32_e32 vcc, 8, v19
	v_addc_co_u32_e64 v21, s[4:5], 0, v7, s[4:5]
	s_and_saveexec_b64 s[4:5], vcc
	s_xor_b64 s[4:5], exec, s[4:5]
	s_cbranch_execz .LBB1_321
; %bb.316:                              ;   in Loop: Header=BB1_283 Depth=1
	v_mov_b32_e32 v16, 0
	v_mov_b32_e32 v17, 0
	v_cmp_ne_u32_e32 vcc, 0, v19
	s_and_saveexec_b64 s[14:15], vcc
	s_cbranch_execz .LBB1_320
; %bb.317:                              ;   in Loop: Header=BB1_283 Depth=1
	v_mov_b32_e32 v16, 0
	s_mov_b64 s[16:17], 0
	v_mov_b32_e32 v17, 0
	s_mov_b64 s[18:19], 0
	s_mov_b64 s[20:21], 0
.LBB1_318:                              ;   Parent Loop BB1_283 Depth=1
                                        ; =>  This Inner Loop Header: Depth=2
	v_mov_b32_e32 v18, s21
	v_add_co_u32_e32 v20, vcc, s20, v6
	v_addc_co_u32_e32 v21, vcc, v7, v18, vcc
	global_load_ubyte v18, v[20:21], off
	s_add_u32 s20, s20, 1
	v_mov_b32_e32 v21, s22
	s_addc_u32 s21, s21, 0
	v_cmp_eq_u32_e32 vcc, s20, v19
	s_waitcnt vmcnt(0)
	v_and_b32_e32 v20, 0xffff, v18
	v_lshlrev_b64 v[20:21], s18, v[20:21]
	s_add_u32 s18, s18, 8
	s_addc_u32 s19, s19, 0
	v_or_b32_e32 v17, v21, v17
	s_or_b64 s[16:17], vcc, s[16:17]
	v_or_b32_e32 v16, v20, v16
	s_andn2_b64 exec, exec, s[16:17]
	s_cbranch_execnz .LBB1_318
; %bb.319:                              ;   in Loop: Header=BB1_283 Depth=1
	s_or_b64 exec, exec, s[16:17]
.LBB1_320:                              ;   in Loop: Header=BB1_283 Depth=1
	s_or_b64 exec, exec, s[14:15]
	v_mov_b32_e32 v21, v7
	v_mov_b32_e32 v20, v6
                                        ; implicit-def: $vgpr19
.LBB1_321:                              ;   in Loop: Header=BB1_283 Depth=1
	s_or_saveexec_b64 s[4:5], s[4:5]
	v_mov_b32_e32 v22, 0
	s_xor_b64 exec, exec, s[4:5]
	s_cbranch_execz .LBB1_323
; %bb.322:                              ;   in Loop: Header=BB1_283 Depth=1
	global_load_dwordx2 v[16:17], v[6:7], off
	v_add_u32_e32 v22, -8, v19
.LBB1_323:                              ;   in Loop: Header=BB1_283 Depth=1
	s_or_b64 exec, exec, s[4:5]
	v_add_co_u32_e64 v6, s[4:5], 8, v20
	v_cmp_gt_u32_e32 vcc, 8, v22
	v_addc_co_u32_e64 v7, s[4:5], 0, v21, s[4:5]
                                        ; implicit-def: $vgpr18_vgpr19
	s_and_saveexec_b64 s[4:5], vcc
	s_xor_b64 s[4:5], exec, s[4:5]
	s_cbranch_execz .LBB1_329
; %bb.324:                              ;   in Loop: Header=BB1_283 Depth=1
	v_mov_b32_e32 v18, 0
	v_mov_b32_e32 v19, 0
	v_cmp_ne_u32_e32 vcc, 0, v22
	s_and_saveexec_b64 s[14:15], vcc
	s_cbranch_execz .LBB1_328
; %bb.325:                              ;   in Loop: Header=BB1_283 Depth=1
	v_mov_b32_e32 v18, 0
	s_mov_b64 s[16:17], 0
	v_mov_b32_e32 v19, 0
	s_mov_b64 s[18:19], 0
	s_mov_b64 s[20:21], 0
.LBB1_326:                              ;   Parent Loop BB1_283 Depth=1
                                        ; =>  This Inner Loop Header: Depth=2
	v_mov_b32_e32 v7, s21
	v_add_co_u32_e32 v6, vcc, s20, v20
	v_addc_co_u32_e32 v7, vcc, v21, v7, vcc
	global_load_ubyte v6, v[6:7], off
	s_add_u32 s20, s20, 1
	v_mov_b32_e32 v7, s22
	s_addc_u32 s21, s21, 0
	v_cmp_eq_u32_e32 vcc, s20, v22
	s_waitcnt vmcnt(0)
	v_and_b32_e32 v6, 0xffff, v6
	v_lshlrev_b64 v[6:7], s18, v[6:7]
	s_add_u32 s18, s18, 8
	s_addc_u32 s19, s19, 0
	v_or_b32_e32 v19, v7, v19
	s_or_b64 s[16:17], vcc, s[16:17]
	v_or_b32_e32 v18, v6, v18
	s_andn2_b64 exec, exec, s[16:17]
	s_cbranch_execnz .LBB1_326
; %bb.327:                              ;   in Loop: Header=BB1_283 Depth=1
	s_or_b64 exec, exec, s[16:17]
.LBB1_328:                              ;   in Loop: Header=BB1_283 Depth=1
	s_or_b64 exec, exec, s[14:15]
	v_mov_b32_e32 v6, v20
	v_mov_b32_e32 v7, v21
                                        ; implicit-def: $vgpr22
.LBB1_329:                              ;   in Loop: Header=BB1_283 Depth=1
	s_or_saveexec_b64 s[4:5], s[4:5]
	v_mov_b32_e32 v23, 0
	s_xor_b64 exec, exec, s[4:5]
	s_cbranch_execz .LBB1_331
; %bb.330:                              ;   in Loop: Header=BB1_283 Depth=1
	global_load_dwordx2 v[18:19], v[20:21], off
	v_add_u32_e32 v23, -8, v22
.LBB1_331:                              ;   in Loop: Header=BB1_283 Depth=1
	s_or_b64 exec, exec, s[4:5]
	v_cmp_gt_u32_e32 vcc, 8, v23
	s_and_saveexec_b64 s[4:5], vcc
	s_xor_b64 s[4:5], exec, s[4:5]
	s_cbranch_execz .LBB1_337
; %bb.332:                              ;   in Loop: Header=BB1_283 Depth=1
	v_mov_b32_e32 v20, 0
	v_mov_b32_e32 v21, 0
	v_cmp_ne_u32_e32 vcc, 0, v23
	s_and_saveexec_b64 s[14:15], vcc
	s_cbranch_execz .LBB1_336
; %bb.333:                              ;   in Loop: Header=BB1_283 Depth=1
	v_mov_b32_e32 v20, 0
	s_mov_b64 s[16:17], 0
	v_mov_b32_e32 v21, 0
	s_mov_b64 s[18:19], 0
.LBB1_334:                              ;   Parent Loop BB1_283 Depth=1
                                        ; =>  This Inner Loop Header: Depth=2
	global_load_ubyte v22, v[6:7], off
	v_mov_b32_e32 v25, s22
	v_add_co_u32_e32 v6, vcc, 1, v6
	v_add_u32_e32 v23, -1, v23
	v_addc_co_u32_e32 v7, vcc, 0, v7, vcc
	v_cmp_eq_u32_e32 vcc, 0, v23
	s_waitcnt vmcnt(0)
	v_and_b32_e32 v24, 0xffff, v22
	v_lshlrev_b64 v[24:25], s18, v[24:25]
	s_add_u32 s18, s18, 8
	s_addc_u32 s19, s19, 0
	v_or_b32_e32 v21, v25, v21
	s_or_b64 s[16:17], vcc, s[16:17]
	v_or_b32_e32 v20, v24, v20
	s_andn2_b64 exec, exec, s[16:17]
	s_cbranch_execnz .LBB1_334
; %bb.335:                              ;   in Loop: Header=BB1_283 Depth=1
	s_or_b64 exec, exec, s[16:17]
.LBB1_336:                              ;   in Loop: Header=BB1_283 Depth=1
	s_or_b64 exec, exec, s[14:15]
                                        ; implicit-def: $vgpr6_vgpr7
.LBB1_337:                              ;   in Loop: Header=BB1_283 Depth=1
	s_andn2_saveexec_b64 s[4:5], s[4:5]
	s_cbranch_execz .LBB1_339
; %bb.338:                              ;   in Loop: Header=BB1_283 Depth=1
	global_load_dwordx2 v[20:21], v[6:7], off
.LBB1_339:                              ;   in Loop: Header=BB1_283 Depth=1
	s_or_b64 exec, exec, s[4:5]
	v_readfirstlane_b32 s4, v34
	v_mov_b32_e32 v6, 0
	v_mov_b32_e32 v7, 0
	v_cmp_eq_u32_e64 s[4:5], s4, v34
	s_and_saveexec_b64 s[14:15], s[4:5]
	s_cbranch_execz .LBB1_345
; %bb.340:                              ;   in Loop: Header=BB1_283 Depth=1
	global_load_dwordx2 v[24:25], v29, s[10:11] offset:24 glc
	s_waitcnt vmcnt(0)
	buffer_wbinvl1_vol
	global_load_dwordx2 v[6:7], v29, s[10:11] offset:40
	global_load_dwordx2 v[22:23], v29, s[10:11]
	s_waitcnt vmcnt(1)
	v_and_b32_e32 v6, v6, v24
	v_and_b32_e32 v7, v7, v25
	v_mul_lo_u32 v7, v7, 24
	v_mul_hi_u32 v28, v6, 24
	v_mul_lo_u32 v6, v6, 24
	v_add_u32_e32 v7, v28, v7
	s_waitcnt vmcnt(0)
	v_add_co_u32_e32 v6, vcc, v22, v6
	v_addc_co_u32_e32 v7, vcc, v23, v7, vcc
	global_load_dwordx2 v[22:23], v[6:7], off glc
	s_waitcnt vmcnt(0)
	global_atomic_cmpswap_x2 v[6:7], v29, v[22:25], s[10:11] offset:24 glc
	s_waitcnt vmcnt(0)
	buffer_wbinvl1_vol
	v_cmp_ne_u64_e32 vcc, v[6:7], v[24:25]
	s_and_saveexec_b64 s[16:17], vcc
	s_cbranch_execz .LBB1_344
; %bb.341:                              ;   in Loop: Header=BB1_283 Depth=1
	s_mov_b64 s[18:19], 0
.LBB1_342:                              ;   Parent Loop BB1_283 Depth=1
                                        ; =>  This Inner Loop Header: Depth=2
	s_sleep 1
	global_load_dwordx2 v[22:23], v29, s[10:11] offset:40
	global_load_dwordx2 v[32:33], v29, s[10:11]
	v_mov_b32_e32 v25, v7
	v_mov_b32_e32 v24, v6
	s_waitcnt vmcnt(1)
	v_and_b32_e32 v6, v22, v24
	s_waitcnt vmcnt(0)
	v_mad_u64_u32 v[6:7], s[20:21], v6, 24, v[32:33]
	v_and_b32_e32 v22, v23, v25
	v_mad_u64_u32 v[22:23], s[20:21], v22, 24, v[7:8]
	v_mov_b32_e32 v7, v22
	global_load_dwordx2 v[22:23], v[6:7], off glc
	s_waitcnt vmcnt(0)
	global_atomic_cmpswap_x2 v[6:7], v29, v[22:25], s[10:11] offset:24 glc
	s_waitcnt vmcnt(0)
	buffer_wbinvl1_vol
	v_cmp_eq_u64_e32 vcc, v[6:7], v[24:25]
	s_or_b64 s[18:19], vcc, s[18:19]
	s_andn2_b64 exec, exec, s[18:19]
	s_cbranch_execnz .LBB1_342
; %bb.343:                              ;   in Loop: Header=BB1_283 Depth=1
	s_or_b64 exec, exec, s[18:19]
.LBB1_344:                              ;   in Loop: Header=BB1_283 Depth=1
	s_or_b64 exec, exec, s[16:17]
.LBB1_345:                              ;   in Loop: Header=BB1_283 Depth=1
	s_or_b64 exec, exec, s[14:15]
	global_load_dwordx2 v[32:33], v29, s[10:11] offset:40
	global_load_dwordx4 v[22:25], v29, s[10:11]
	v_readfirstlane_b32 s15, v7
	v_readfirstlane_b32 s14, v6
	s_mov_b64 s[16:17], exec
	s_waitcnt vmcnt(1)
	v_readfirstlane_b32 s18, v32
	v_readfirstlane_b32 s19, v33
	s_and_b64 s[18:19], s[18:19], s[14:15]
	s_mul_i32 s20, s19, 24
	s_mul_hi_u32 s21, s18, 24
	s_mul_i32 s24, s18, 24
	s_add_i32 s20, s21, s20
	v_mov_b32_e32 v6, s20
	s_waitcnt vmcnt(0)
	v_add_co_u32_e32 v32, vcc, s24, v22
	v_addc_co_u32_e32 v33, vcc, v23, v6, vcc
	s_and_saveexec_b64 s[20:21], s[4:5]
	s_cbranch_execz .LBB1_347
; %bb.346:                              ;   in Loop: Header=BB1_283 Depth=1
	v_mov_b32_e32 v6, s16
	v_mov_b32_e32 v7, s17
	global_store_dwordx4 v[32:33], v[6:9], off offset:8
.LBB1_347:                              ;   in Loop: Header=BB1_283 Depth=1
	s_or_b64 exec, exec, s[20:21]
	s_lshl_b64 s[16:17], s[18:19], 12
	v_mov_b32_e32 v6, s17
	v_add_co_u32_e32 v24, vcc, s16, v24
	v_addc_co_u32_e32 v25, vcc, v25, v6, vcc
	v_cmp_gt_u64_e32 vcc, 57, v[26:27]
	v_and_b32_e32 v0, 0xffffff1f, v0
	v_cndmask_b32_e32 v6, 0, v36, vcc
	v_lshl_add_u32 v7, v30, 2, 28
	v_or_b32_e32 v0, v0, v6
	v_and_or_b32 v0, v7, s23, v0
	v_readfirstlane_b32 s16, v24
	v_readfirstlane_b32 s17, v25
	s_nop 4
	global_store_dwordx4 v35, v[0:3], s[16:17]
	global_store_dwordx4 v35, v[10:13], s[16:17] offset:16
	global_store_dwordx4 v35, v[14:17], s[16:17] offset:32
	;; [unrolled: 1-line block ×3, first 2 shown]
	s_and_saveexec_b64 s[16:17], s[4:5]
	s_cbranch_execz .LBB1_355
; %bb.348:                              ;   in Loop: Header=BB1_283 Depth=1
	global_load_dwordx2 v[12:13], v29, s[10:11] offset:32 glc
	global_load_dwordx2 v[0:1], v29, s[10:11] offset:40
	v_mov_b32_e32 v10, s14
	v_mov_b32_e32 v11, s15
	s_waitcnt vmcnt(0)
	v_readfirstlane_b32 s18, v0
	v_readfirstlane_b32 s19, v1
	s_and_b64 s[18:19], s[18:19], s[14:15]
	s_mul_i32 s19, s19, 24
	s_mul_hi_u32 s20, s18, 24
	s_mul_i32 s18, s18, 24
	s_add_i32 s19, s20, s19
	v_mov_b32_e32 v0, s19
	v_add_co_u32_e32 v6, vcc, s18, v22
	v_addc_co_u32_e32 v7, vcc, v23, v0, vcc
	global_store_dwordx2 v[6:7], v[12:13], off
	s_waitcnt vmcnt(0)
	global_atomic_cmpswap_x2 v[2:3], v29, v[10:13], s[10:11] offset:32 glc
	s_waitcnt vmcnt(0)
	v_cmp_ne_u64_e32 vcc, v[2:3], v[12:13]
	s_and_saveexec_b64 s[18:19], vcc
	s_cbranch_execz .LBB1_351
; %bb.349:                              ;   in Loop: Header=BB1_283 Depth=1
	s_mov_b64 s[20:21], 0
.LBB1_350:                              ;   Parent Loop BB1_283 Depth=1
                                        ; =>  This Inner Loop Header: Depth=2
	s_sleep 1
	global_store_dwordx2 v[6:7], v[2:3], off
	v_mov_b32_e32 v0, s14
	v_mov_b32_e32 v1, s15
	s_waitcnt vmcnt(0)
	global_atomic_cmpswap_x2 v[0:1], v29, v[0:3], s[10:11] offset:32 glc
	s_waitcnt vmcnt(0)
	v_cmp_eq_u64_e32 vcc, v[0:1], v[2:3]
	v_mov_b32_e32 v3, v1
	s_or_b64 s[20:21], vcc, s[20:21]
	v_mov_b32_e32 v2, v0
	s_andn2_b64 exec, exec, s[20:21]
	s_cbranch_execnz .LBB1_350
.LBB1_351:                              ;   in Loop: Header=BB1_283 Depth=1
	s_or_b64 exec, exec, s[18:19]
	global_load_dwordx2 v[0:1], v29, s[10:11] offset:16
	s_mov_b64 s[20:21], exec
	v_mbcnt_lo_u32_b32 v2, s20, 0
	v_mbcnt_hi_u32_b32 v2, s21, v2
	v_cmp_eq_u32_e32 vcc, 0, v2
	s_and_saveexec_b64 s[18:19], vcc
	s_cbranch_execz .LBB1_353
; %bb.352:                              ;   in Loop: Header=BB1_283 Depth=1
	s_bcnt1_i32_b64 s20, s[20:21]
	v_mov_b32_e32 v28, s20
	s_waitcnt vmcnt(0)
	global_atomic_add_x2 v[0:1], v[28:29], off offset:8
.LBB1_353:                              ;   in Loop: Header=BB1_283 Depth=1
	s_or_b64 exec, exec, s[18:19]
	s_waitcnt vmcnt(0)
	global_load_dwordx2 v[2:3], v[0:1], off offset:16
	s_waitcnt vmcnt(0)
	v_cmp_eq_u64_e32 vcc, 0, v[2:3]
	s_cbranch_vccnz .LBB1_355
; %bb.354:                              ;   in Loop: Header=BB1_283 Depth=1
	global_load_dword v28, v[0:1], off offset:24
	s_waitcnt vmcnt(0)
	v_readfirstlane_b32 s18, v28
	s_and_b32 m0, s18, 0xffffff
	global_store_dwordx2 v[2:3], v[28:29], off
	s_sendmsg sendmsg(MSG_INTERRUPT)
.LBB1_355:                              ;   in Loop: Header=BB1_283 Depth=1
	s_or_b64 exec, exec, s[16:17]
	v_add_co_u32_e32 v0, vcc, v24, v35
	v_addc_co_u32_e32 v1, vcc, 0, v25, vcc
	s_branch .LBB1_359
.LBB1_356:                              ;   in Loop: Header=BB1_359 Depth=2
	s_or_b64 exec, exec, s[16:17]
	v_readfirstlane_b32 s16, v2
	s_cmp_eq_u32 s16, 0
	s_cbranch_scc1 .LBB1_358
; %bb.357:                              ;   in Loop: Header=BB1_359 Depth=2
	s_sleep 1
	s_cbranch_execnz .LBB1_359
	s_branch .LBB1_361
.LBB1_358:                              ;   in Loop: Header=BB1_283 Depth=1
	s_branch .LBB1_361
.LBB1_359:                              ;   Parent Loop BB1_283 Depth=1
                                        ; =>  This Inner Loop Header: Depth=2
	v_mov_b32_e32 v2, 1
	s_and_saveexec_b64 s[16:17], s[4:5]
	s_cbranch_execz .LBB1_356
; %bb.360:                              ;   in Loop: Header=BB1_359 Depth=2
	global_load_dword v2, v[32:33], off offset:20 glc
	s_waitcnt vmcnt(0)
	buffer_wbinvl1_vol
	v_and_b32_e32 v2, 1, v2
	s_branch .LBB1_356
.LBB1_361:                              ;   in Loop: Header=BB1_283 Depth=1
	global_load_dwordx2 v[0:1], v[0:1], off
	s_and_saveexec_b64 s[16:17], s[4:5]
	s_cbranch_execz .LBB1_282
; %bb.362:                              ;   in Loop: Header=BB1_283 Depth=1
	global_load_dwordx2 v[2:3], v29, s[10:11] offset:40
	global_load_dwordx2 v[14:15], v29, s[10:11] offset:24 glc
	global_load_dwordx2 v[6:7], v29, s[10:11]
	s_waitcnt vmcnt(2)
	v_readfirstlane_b32 s18, v2
	v_readfirstlane_b32 s19, v3
	s_add_u32 s20, s18, 1
	s_addc_u32 s21, s19, 0
	s_add_u32 s4, s20, s14
	s_addc_u32 s5, s21, s15
	s_cmp_eq_u64 s[4:5], 0
	s_cselect_b32 s5, s21, s5
	s_cselect_b32 s4, s20, s4
	s_and_b64 s[14:15], s[4:5], s[18:19]
	s_mul_i32 s15, s15, 24
	s_mul_hi_u32 s18, s14, 24
	s_mul_i32 s14, s14, 24
	s_add_i32 s15, s18, s15
	v_mov_b32_e32 v3, s15
	s_waitcnt vmcnt(0)
	v_add_co_u32_e32 v2, vcc, s14, v6
	v_addc_co_u32_e32 v3, vcc, v7, v3, vcc
	v_mov_b32_e32 v12, s4
	global_store_dwordx2 v[2:3], v[14:15], off
	v_mov_b32_e32 v13, s5
	s_waitcnt vmcnt(0)
	global_atomic_cmpswap_x2 v[12:13], v29, v[12:15], s[10:11] offset:24 glc
	s_waitcnt vmcnt(0)
	v_cmp_ne_u64_e32 vcc, v[12:13], v[14:15]
	s_and_b64 exec, exec, vcc
	s_cbranch_execz .LBB1_282
; %bb.363:                              ;   in Loop: Header=BB1_283 Depth=1
	s_mov_b64 s[14:15], 0
.LBB1_364:                              ;   Parent Loop BB1_283 Depth=1
                                        ; =>  This Inner Loop Header: Depth=2
	s_sleep 1
	global_store_dwordx2 v[2:3], v[12:13], off
	v_mov_b32_e32 v10, s4
	v_mov_b32_e32 v11, s5
	s_waitcnt vmcnt(0)
	global_atomic_cmpswap_x2 v[6:7], v29, v[10:13], s[10:11] offset:24 glc
	s_waitcnt vmcnt(0)
	v_cmp_eq_u64_e32 vcc, v[6:7], v[12:13]
	v_mov_b32_e32 v13, v7
	s_or_b64 s[14:15], vcc, s[14:15]
	v_mov_b32_e32 v12, v6
	s_andn2_b64 exec, exec, s[14:15]
	s_cbranch_execnz .LBB1_364
	s_branch .LBB1_282
.LBB1_365:
	s_or_b64 exec, exec, s[12:13]
                                        ; implicit-def: $vgpr35
                                        ; implicit-def: $vgpr34
.LBB1_366:
	s_andn2_saveexec_b64 s[6:7], s[6:7]
	s_cbranch_execz .LBB1_393
; %bb.367:
	v_readfirstlane_b32 s4, v34
	v_mov_b32_e32 v8, 0
	v_mov_b32_e32 v9, 0
	v_cmp_eq_u32_e64 s[4:5], s4, v34
	s_and_saveexec_b64 s[12:13], s[4:5]
	s_cbranch_execz .LBB1_373
; %bb.368:
	v_mov_b32_e32 v2, 0
	global_load_dwordx2 v[5:6], v2, s[10:11] offset:24 glc
	s_waitcnt vmcnt(0)
	buffer_wbinvl1_vol
	global_load_dwordx2 v[3:4], v2, s[10:11] offset:40
	global_load_dwordx2 v[7:8], v2, s[10:11]
	s_waitcnt vmcnt(1)
	v_and_b32_e32 v3, v3, v5
	v_and_b32_e32 v4, v4, v6
	v_mul_lo_u32 v4, v4, 24
	v_mul_hi_u32 v9, v3, 24
	v_mul_lo_u32 v3, v3, 24
	v_add_u32_e32 v4, v9, v4
	s_waitcnt vmcnt(0)
	v_add_co_u32_e32 v3, vcc, v7, v3
	v_addc_co_u32_e32 v4, vcc, v8, v4, vcc
	global_load_dwordx2 v[3:4], v[3:4], off glc
	s_waitcnt vmcnt(0)
	global_atomic_cmpswap_x2 v[8:9], v2, v[3:6], s[10:11] offset:24 glc
	s_waitcnt vmcnt(0)
	buffer_wbinvl1_vol
	v_cmp_ne_u64_e32 vcc, v[8:9], v[5:6]
	s_and_saveexec_b64 s[14:15], vcc
	s_cbranch_execz .LBB1_372
; %bb.369:
	s_mov_b64 s[16:17], 0
.LBB1_370:                              ; =>This Inner Loop Header: Depth=1
	s_sleep 1
	global_load_dwordx2 v[3:4], v2, s[10:11] offset:40
	global_load_dwordx2 v[10:11], v2, s[10:11]
	v_mov_b32_e32 v5, v8
	v_mov_b32_e32 v6, v9
	s_waitcnt vmcnt(1)
	v_and_b32_e32 v3, v3, v5
	s_waitcnt vmcnt(0)
	v_mad_u64_u32 v[7:8], s[18:19], v3, 24, v[10:11]
	v_and_b32_e32 v4, v4, v6
	v_mov_b32_e32 v3, v8
	v_mad_u64_u32 v[3:4], s[18:19], v4, 24, v[3:4]
	v_mov_b32_e32 v8, v3
	global_load_dwordx2 v[3:4], v[7:8], off glc
	s_waitcnt vmcnt(0)
	global_atomic_cmpswap_x2 v[8:9], v2, v[3:6], s[10:11] offset:24 glc
	s_waitcnt vmcnt(0)
	buffer_wbinvl1_vol
	v_cmp_eq_u64_e32 vcc, v[8:9], v[5:6]
	s_or_b64 s[16:17], vcc, s[16:17]
	s_andn2_b64 exec, exec, s[16:17]
	s_cbranch_execnz .LBB1_370
; %bb.371:
	s_or_b64 exec, exec, s[16:17]
.LBB1_372:
	s_or_b64 exec, exec, s[14:15]
.LBB1_373:
	s_or_b64 exec, exec, s[12:13]
	v_mov_b32_e32 v2, 0
	global_load_dwordx2 v[10:11], v2, s[10:11] offset:40
	global_load_dwordx4 v[4:7], v2, s[10:11]
	v_readfirstlane_b32 s13, v9
	v_readfirstlane_b32 s12, v8
	s_mov_b64 s[14:15], exec
	s_waitcnt vmcnt(1)
	v_readfirstlane_b32 s16, v10
	v_readfirstlane_b32 s17, v11
	s_and_b64 s[16:17], s[16:17], s[12:13]
	s_mul_i32 s18, s17, 24
	s_mul_hi_u32 s19, s16, 24
	s_mul_i32 s20, s16, 24
	s_add_i32 s18, s19, s18
	v_mov_b32_e32 v3, s18
	s_waitcnt vmcnt(0)
	v_add_co_u32_e32 v8, vcc, s20, v4
	v_addc_co_u32_e32 v9, vcc, v5, v3, vcc
	s_and_saveexec_b64 s[18:19], s[4:5]
	s_cbranch_execz .LBB1_375
; %bb.374:
	v_mov_b32_e32 v10, s14
	v_mov_b32_e32 v11, s15
	;; [unrolled: 1-line block ×4, first 2 shown]
	global_store_dwordx4 v[8:9], v[10:13], off offset:8
.LBB1_375:
	s_or_b64 exec, exec, s[18:19]
	s_lshl_b64 s[14:15], s[16:17], 12
	v_mov_b32_e32 v3, s15
	v_add_co_u32_e32 v10, vcc, s14, v6
	v_addc_co_u32_e32 v11, vcc, v7, v3, vcc
	s_movk_i32 s14, 0xff1f
	v_and_or_b32 v0, v0, s14, 32
	s_mov_b32 s16, 0
	v_mov_b32_e32 v3, v2
	v_readfirstlane_b32 s14, v10
	v_readfirstlane_b32 s15, v11
	v_add_co_u32_e32 v6, vcc, v10, v35
	s_mov_b32 s17, s16
	s_mov_b32 s18, s16
	s_mov_b32 s19, s16
	s_nop 0
	global_store_dwordx4 v35, v[0:3], s[14:15]
	v_addc_co_u32_e32 v7, vcc, 0, v11, vcc
	v_mov_b32_e32 v0, s16
	v_mov_b32_e32 v1, s17
	;; [unrolled: 1-line block ×4, first 2 shown]
	global_store_dwordx4 v35, v[0:3], s[14:15] offset:16
	global_store_dwordx4 v35, v[0:3], s[14:15] offset:32
	;; [unrolled: 1-line block ×3, first 2 shown]
	s_and_saveexec_b64 s[14:15], s[4:5]
	s_cbranch_execz .LBB1_383
; %bb.376:
	v_mov_b32_e32 v10, 0
	global_load_dwordx2 v[13:14], v10, s[10:11] offset:32 glc
	global_load_dwordx2 v[0:1], v10, s[10:11] offset:40
	v_mov_b32_e32 v11, s12
	v_mov_b32_e32 v12, s13
	s_waitcnt vmcnt(0)
	v_readfirstlane_b32 s16, v0
	v_readfirstlane_b32 s17, v1
	s_and_b64 s[16:17], s[16:17], s[12:13]
	s_mul_i32 s17, s17, 24
	s_mul_hi_u32 s18, s16, 24
	s_mul_i32 s16, s16, 24
	s_add_i32 s17, s18, s17
	v_mov_b32_e32 v0, s17
	v_add_co_u32_e32 v4, vcc, s16, v4
	v_addc_co_u32_e32 v5, vcc, v5, v0, vcc
	global_store_dwordx2 v[4:5], v[13:14], off
	s_waitcnt vmcnt(0)
	global_atomic_cmpswap_x2 v[2:3], v10, v[11:14], s[10:11] offset:32 glc
	s_waitcnt vmcnt(0)
	v_cmp_ne_u64_e32 vcc, v[2:3], v[13:14]
	s_and_saveexec_b64 s[16:17], vcc
	s_cbranch_execz .LBB1_379
; %bb.377:
	s_mov_b64 s[18:19], 0
.LBB1_378:                              ; =>This Inner Loop Header: Depth=1
	s_sleep 1
	global_store_dwordx2 v[4:5], v[2:3], off
	v_mov_b32_e32 v0, s12
	v_mov_b32_e32 v1, s13
	s_waitcnt vmcnt(0)
	global_atomic_cmpswap_x2 v[0:1], v10, v[0:3], s[10:11] offset:32 glc
	s_waitcnt vmcnt(0)
	v_cmp_eq_u64_e32 vcc, v[0:1], v[2:3]
	v_mov_b32_e32 v3, v1
	s_or_b64 s[18:19], vcc, s[18:19]
	v_mov_b32_e32 v2, v0
	s_andn2_b64 exec, exec, s[18:19]
	s_cbranch_execnz .LBB1_378
.LBB1_379:
	s_or_b64 exec, exec, s[16:17]
	v_mov_b32_e32 v3, 0
	global_load_dwordx2 v[0:1], v3, s[10:11] offset:16
	s_mov_b64 s[16:17], exec
	v_mbcnt_lo_u32_b32 v2, s16, 0
	v_mbcnt_hi_u32_b32 v2, s17, v2
	v_cmp_eq_u32_e32 vcc, 0, v2
	s_and_saveexec_b64 s[18:19], vcc
	s_cbranch_execz .LBB1_381
; %bb.380:
	s_bcnt1_i32_b64 s16, s[16:17]
	v_mov_b32_e32 v2, s16
	s_waitcnt vmcnt(0)
	global_atomic_add_x2 v[0:1], v[2:3], off offset:8
.LBB1_381:
	s_or_b64 exec, exec, s[18:19]
	s_waitcnt vmcnt(0)
	global_load_dwordx2 v[2:3], v[0:1], off offset:16
	s_waitcnt vmcnt(0)
	v_cmp_eq_u64_e32 vcc, 0, v[2:3]
	s_cbranch_vccnz .LBB1_383
; %bb.382:
	global_load_dword v0, v[0:1], off offset:24
	v_mov_b32_e32 v1, 0
	s_waitcnt vmcnt(0)
	v_readfirstlane_b32 s16, v0
	s_and_b32 m0, s16, 0xffffff
	global_store_dwordx2 v[2:3], v[0:1], off
	s_sendmsg sendmsg(MSG_INTERRUPT)
.LBB1_383:
	s_or_b64 exec, exec, s[14:15]
	s_branch .LBB1_387
.LBB1_384:                              ;   in Loop: Header=BB1_387 Depth=1
	s_or_b64 exec, exec, s[14:15]
	v_readfirstlane_b32 s14, v0
	s_cmp_eq_u32 s14, 0
	s_cbranch_scc1 .LBB1_386
; %bb.385:                              ;   in Loop: Header=BB1_387 Depth=1
	s_sleep 1
	s_cbranch_execnz .LBB1_387
	s_branch .LBB1_389
.LBB1_386:
	s_branch .LBB1_389
.LBB1_387:                              ; =>This Inner Loop Header: Depth=1
	v_mov_b32_e32 v0, 1
	s_and_saveexec_b64 s[14:15], s[4:5]
	s_cbranch_execz .LBB1_384
; %bb.388:                              ;   in Loop: Header=BB1_387 Depth=1
	global_load_dword v0, v[8:9], off offset:20 glc
	s_waitcnt vmcnt(0)
	buffer_wbinvl1_vol
	v_and_b32_e32 v0, 1, v0
	s_branch .LBB1_384
.LBB1_389:
	global_load_dwordx2 v[0:1], v[6:7], off
	s_and_saveexec_b64 s[14:15], s[4:5]
	s_cbranch_execz .LBB1_392
; %bb.390:
	v_mov_b32_e32 v8, 0
	global_load_dwordx2 v[2:3], v8, s[10:11] offset:40
	global_load_dwordx2 v[11:12], v8, s[10:11] offset:24 glc
	global_load_dwordx2 v[4:5], v8, s[10:11]
	s_waitcnt vmcnt(2)
	v_readfirstlane_b32 s16, v2
	v_readfirstlane_b32 s17, v3
	s_add_u32 s18, s16, 1
	s_addc_u32 s19, s17, 0
	s_add_u32 s4, s18, s12
	s_addc_u32 s5, s19, s13
	s_cmp_eq_u64 s[4:5], 0
	s_cselect_b32 s5, s19, s5
	s_cselect_b32 s4, s18, s4
	s_and_b64 s[12:13], s[4:5], s[16:17]
	s_mul_i32 s13, s13, 24
	s_mul_hi_u32 s16, s12, 24
	s_mul_i32 s12, s12, 24
	s_add_i32 s13, s16, s13
	v_mov_b32_e32 v2, s13
	s_waitcnt vmcnt(0)
	v_add_co_u32_e32 v6, vcc, s12, v4
	v_addc_co_u32_e32 v7, vcc, v5, v2, vcc
	v_mov_b32_e32 v9, s4
	global_store_dwordx2 v[6:7], v[11:12], off
	v_mov_b32_e32 v10, s5
	s_waitcnt vmcnt(0)
	global_atomic_cmpswap_x2 v[4:5], v8, v[9:12], s[10:11] offset:24 glc
	s_mov_b64 s[12:13], 0
	s_waitcnt vmcnt(0)
	v_cmp_ne_u64_e32 vcc, v[4:5], v[11:12]
	s_and_b64 exec, exec, vcc
	s_cbranch_execz .LBB1_392
.LBB1_391:                              ; =>This Inner Loop Header: Depth=1
	s_sleep 1
	global_store_dwordx2 v[6:7], v[4:5], off
	v_mov_b32_e32 v2, s4
	v_mov_b32_e32 v3, s5
	s_waitcnt vmcnt(0)
	global_atomic_cmpswap_x2 v[2:3], v8, v[2:5], s[10:11] offset:24 glc
	s_waitcnt vmcnt(0)
	v_cmp_eq_u64_e32 vcc, v[2:3], v[4:5]
	v_mov_b32_e32 v5, v3
	s_or_b64 s[12:13], vcc, s[12:13]
	v_mov_b32_e32 v4, v2
	s_andn2_b64 exec, exec, s[12:13]
	s_cbranch_execnz .LBB1_391
.LBB1_392:
	s_or_b64 exec, exec, s[14:15]
.LBB1_393:
	s_or_b64 exec, exec, s[6:7]
	s_getpc_b64 s[4:5]
	s_add_u32 s4, s4, .str.3@rel32@lo+4
	s_addc_u32 s5, s5, .str.3@rel32@hi+12
	s_getpc_b64 s[6:7]
	s_add_u32 s6, s6, .str.3@rel32@lo+32
	s_addc_u32 s7, s7, .str.3@rel32@hi+40
	s_sub_i32 s10, s6, s4
	s_ashr_i32 s11, s10, 31
	s_getpc_b64 s[6:7]
	s_add_u32 s6, s6, __ockl_fprintf_append_string_n@rel32@lo+4
	s_addc_u32 s7, s7, __ockl_fprintf_append_string_n@rel32@hi+12
	v_mov_b32_e32 v2, s4
	v_mov_b32_e32 v3, s5
	;; [unrolled: 1-line block ×5, first 2 shown]
	s_swappc_b64 s[30:31], s[6:7]
	s_trap 2
.Lfunc_end1:
	.size	__assert_fail, .Lfunc_end1-__assert_fail
                                        ; -- End function
	.set .L__assert_fail.num_vgpr, max(41, .L__ockl_fprintf_append_string_n.num_vgpr)
	.set .L__assert_fail.num_agpr, max(0, .L__ockl_fprintf_append_string_n.num_agpr)
	.set .L__assert_fail.numbered_sgpr, max(34, .L__ockl_fprintf_append_string_n.numbered_sgpr)
	.set .L__assert_fail.num_named_barrier, max(0, .L__ockl_fprintf_append_string_n.num_named_barrier)
	.set .L__assert_fail.private_seg_size, 64+max(.L__ockl_fprintf_append_string_n.private_seg_size)
	.set .L__assert_fail.uses_vcc, or(1, .L__ockl_fprintf_append_string_n.uses_vcc)
	.set .L__assert_fail.uses_flat_scratch, or(0, .L__ockl_fprintf_append_string_n.uses_flat_scratch)
	.set .L__assert_fail.has_dyn_sized_stack, or(0, .L__ockl_fprintf_append_string_n.has_dyn_sized_stack)
	.set .L__assert_fail.has_recursion, or(0, .L__ockl_fprintf_append_string_n.has_recursion)
	.set .L__assert_fail.has_indirect_call, or(0, .L__ockl_fprintf_append_string_n.has_indirect_call)
	.section	.AMDGPU.csdata,"",@progbits
; Function info:
; codeLenInByte = 13844
; TotalNumSgprs: 38
; NumVgprs: 41
; ScratchSize: 64
; MemoryBound: 0
	.text
	.p2align	2                               ; -- Begin function _ZN12_GLOBAL__N_17runRingIh14FuncSumPostDivIhE11ProtoSimpleILi2ELi2ELi0ELi1ELi0ELi0EELi0ELi0ELi1ELi0EEEviiP15ncclDevWorkColl
	.type	_ZN12_GLOBAL__N_17runRingIh14FuncSumPostDivIhE11ProtoSimpleILi2ELi2ELi0ELi1ELi0ELi0EELi0ELi0ELi1ELi0EEEviiP15ncclDevWorkColl,@function
_ZN12_GLOBAL__N_17runRingIh14FuncSumPostDivIhE11ProtoSimpleILi2ELi2ELi0ELi1ELi0ELi0EELi0ELi0ELi1ELi0EEEviiP15ncclDevWorkColl: ; @_ZN12_GLOBAL__N_17runRingIh14FuncSumPostDivIhE11ProtoSimpleILi2ELi2ELi0ELi1ELi0ELi0EELi0ELi0ELi1ELi0EEEviiP15ncclDevWorkColl
; %bb.0:
	s_waitcnt vmcnt(0) expcnt(0) lgkmcnt(0)
	s_mov_b32 s4, s33
	s_mov_b32 s33, s32
	s_or_saveexec_b64 s[6:7], -1
	buffer_store_dword v63, off, s[0:3], s33 offset:252 ; 4-byte Folded Spill
	s_mov_b64 exec, s[6:7]
	v_writelane_b32 v63, s4, 35
	s_addk_i32 s32, 0x4400
	buffer_store_dword v40, off, s[0:3], s33 offset:56 ; 4-byte Folded Spill
	buffer_store_dword v41, off, s[0:3], s33 offset:52 ; 4-byte Folded Spill
	;; [unrolled: 1-line block ×14, first 2 shown]
	buffer_store_dword v62, off, s[0:3], s33 ; 4-byte Folded Spill
	v_writelane_b32 v63, s34, 0
	v_writelane_b32 v63, s35, 1
	;; [unrolled: 1-line block ×35, first 2 shown]
	s_trap 2
	flat_load_dword v4, v[2:3]
	ds_read_b32 v5, v0
	v_mov_b32_e32 v16, v1
	v_mov_b32_e32 v61, v0
                                        ; implicit-def: $vgpr0_vgpr1
                                        ; kill: killed $vgpr0_vgpr1
                                        ; implicit-def: $vgpr0_vgpr1
                                        ; implicit-def: $vgpr28_vgpr29
	buffer_store_dword v0, off, s[0:3], s33 offset:184 ; 4-byte Folded Spill
	s_nop 0
	buffer_store_dword v1, off, s[0:3], s33 offset:188 ; 4-byte Folded Spill
	buffer_store_dword v2, off, s[0:3], s33 offset:192 ; 4-byte Folded Spill
	;; [unrolled: 1-line block ×3, first 2 shown]
	s_waitcnt lgkmcnt(0)
	v_readfirstlane_b32 s52, v5
	s_waitcnt vmcnt(0)
	v_cmp_ne_u32_sdwa s[4:5], v5, v4 src0_sel:DWORD src1_sel:BYTE_0
	s_and_saveexec_b64 s[6:7], s[4:5]
	s_xor_b64 s[4:5], exec, s[6:7]
	s_cbranch_execz .LBB2_6
; %bb.1:
                                        ; implicit-def: $vgpr6_vgpr7
	v_not_b32_sdwa v1, v4 dst_sel:DWORD dst_unused:UNUSED_PAD src0_sel:BYTE_0
	v_cmp_ne_u32_sdwa s[6:7], v5, v4 src0_sel:DWORD src1_sel:BYTE_1
                                        ; kill: killed $vgpr6_vgpr7
                                        ; implicit-def: $vgpr6_vgpr7
                                        ; implicit-def: $vgpr28_vgpr29
	buffer_store_dword v6, off, s[0:3], s33 offset:184 ; 4-byte Folded Spill
	s_nop 0
	buffer_store_dword v7, off, s[0:3], s33 offset:188 ; 4-byte Folded Spill
	buffer_store_dword v8, off, s[0:3], s33 offset:192 ; 4-byte Folded Spill
	;; [unrolled: 1-line block ×3, first 2 shown]
	s_and_saveexec_b64 s[10:11], s[6:7]
	s_xor_b64 s[6:7], exec, s[10:11]
	s_cbranch_execz .LBB2_3
; %bb.2:
	flat_load_dwordx4 v[6:9], v[2:3] offset:72
	flat_load_dwordx2 v[10:11], v[2:3] offset:96
	v_add_u32_e32 v0, v5, v1
	v_ashrrev_i32_e32 v1, 31, v0
	s_waitcnt vmcnt(0) lgkmcnt(0)
	v_mul_lo_u32 v1, v8, v1
	v_mad_u64_u32 v[4:5], s[10:11], v8, v0, v[6:7]
	v_mul_lo_u32 v0, v9, v0
	v_lshrrev_b64 v[28:29], 12, v[10:11]
	v_add3_u32 v5, v0, v5, v1
	v_mov_b32_e32 v0, v8
	v_mov_b32_e32 v1, v9
	buffer_store_dword v4, off, s[0:3], s33 offset:200 ; 4-byte Folded Spill
	s_nop 0
	buffer_store_dword v5, off, s[0:3], s33 offset:204 ; 4-byte Folded Spill
	buffer_store_dword v0, off, s[0:3], s33 offset:184 ; 4-byte Folded Spill
	s_nop 0
	buffer_store_dword v1, off, s[0:3], s33 offset:188 ; 4-byte Folded Spill
	buffer_store_dword v2, off, s[0:3], s33 offset:192 ; 4-byte Folded Spill
	;; [unrolled: 1-line block ×3, first 2 shown]
                                        ; implicit-def: $vgpr4
                                        ; implicit-def: $vgpr1
.LBB2_3:
	s_andn2_saveexec_b64 s[6:7], s[6:7]
	s_cbranch_execz .LBB2_5
; %bb.4:
	flat_load_dwordx4 v[5:8], v[2:3] offset:72
	flat_load_dwordx4 v[9:12], v[2:3] offset:88
	v_add_u32_sdwa v0, v4, v1 dst_sel:DWORD dst_unused:UNUSED_PAD src0_sel:BYTE_1 src1_sel:DWORD
	v_ashrrev_i32_e32 v1, 31, v0
	s_waitcnt vmcnt(0) lgkmcnt(0)
	v_mul_lo_u32 v1, v7, v1
	v_mad_u64_u32 v[4:5], s[10:11], v7, v0, v[5:6]
	v_mul_lo_u32 v0, v8, v0
	v_lshrrev_b32_e32 v28, 1, v12
	v_add3_u32 v5, v0, v5, v1
	v_mov_b32_e32 v0, v9
	v_mov_b32_e32 v1, v10
	buffer_store_dword v4, off, s[0:3], s33 offset:200 ; 4-byte Folded Spill
	s_nop 0
	buffer_store_dword v5, off, s[0:3], s33 offset:204 ; 4-byte Folded Spill
	buffer_store_dword v0, off, s[0:3], s33 offset:184 ; 4-byte Folded Spill
	s_nop 0
	buffer_store_dword v1, off, s[0:3], s33 offset:188 ; 4-byte Folded Spill
	buffer_store_dword v2, off, s[0:3], s33 offset:192 ; 4-byte Folded Spill
	;; [unrolled: 1-line block ×3, first 2 shown]
.LBB2_5:
	s_or_b64 exec, exec, s[6:7]
.LBB2_6:
	s_andn2_saveexec_b64 s[4:5], s[4:5]
	s_cbranch_execz .LBB2_8
; %bb.7:
	flat_load_dwordx2 v[0:1], v[2:3] offset:96
	flat_load_dwordx2 v[4:5], v[2:3] offset:72
	s_waitcnt vmcnt(0) lgkmcnt(0)
	buffer_store_dword v4, off, s[0:3], s33 offset:184 ; 4-byte Folded Spill
	s_nop 0
	buffer_store_dword v5, off, s[0:3], s33 offset:188 ; 4-byte Folded Spill
	buffer_store_dword v6, off, s[0:3], s33 offset:192 ; 4-byte Folded Spill
	;; [unrolled: 1-line block ×3, first 2 shown]
	v_lshlrev_b64 v[28:29], 9, v[0:1]
	v_mov_b32_e32 v0, 0
	v_mov_b32_e32 v1, 0
	buffer_store_dword v0, off, s[0:3], s33 offset:200 ; 4-byte Folded Spill
	s_nop 0
	buffer_store_dword v1, off, s[0:3], s33 offset:204 ; 4-byte Folded Spill
.LBB2_8:
	s_or_b64 exec, exec, s[4:5]
	s_trap 2
	ds_read_b64 v[4:5], v0
	s_waitcnt lgkmcnt(0)
	v_cmp_ne_u32_e32 vcc, -1, v4
	v_cndmask_b32_e64 v1, 0, 1, vcc
	v_cmp_ne_u32_e32 vcc, -1, v5
	v_addc_co_u32_e64 v4, s[4:5], 0, v1, vcc
	v_lshlrev_b32_e32 v0, 1, v4
	v_cmp_le_u32_e64 s[4:5], v0, v16
	s_and_saveexec_b64 s[6:7], s[4:5]
	s_xor_b64 s[44:45], exec, s[6:7]
	s_cbranch_execz .LBB2_1249
; %bb.9:
	flat_load_dwordx4 v[10:13], v[2:3] offset:16
	flat_load_dwordx2 v[29:30], v[2:3] offset:104
	flat_load_ushort v7, v[2:3] offset:8
	flat_load_dword v6, v[2:3] offset:4
	s_trap 2
	s_load_dword s4, s[8:9], 0x0
	v_mov_b32_e32 v0, 0
	v_mov_b32_e32 v47, 4
	s_waitcnt lgkmcnt(0)
	s_cmp_lt_u32 s12, s4
	s_cselect_b32 s4, 12, 18
	s_add_u32 s4, s8, s4
	s_addc_u32 s5, s9, 0
	global_load_ushort v17, v0, s[4:5]
	ds_read_b32 v0, v0
	v_cmp_ge_u32_e64 s[4:5], v61, v1
	s_waitcnt lgkmcnt(0)
	v_readfirstlane_b32 s26, v0
	s_and_saveexec_b64 s[6:7], s[4:5]
	s_cbranch_execz .LBB2_19
; %bb.10:
	v_cmp_ge_u32_e64 s[4:5], v61, v4
                                        ; implicit-def: $vgpr47
	s_and_saveexec_b64 s[10:11], s[4:5]
	s_xor_b64 s[4:5], exec, s[10:11]
	s_cbranch_execz .LBB2_16
; %bb.11:
	v_cndmask_b32_e64 v0, 0, 1, vcc
	v_sub_u32_e32 v0, v16, v0
	v_cmp_ge_u32_e32 vcc, v61, v0
	s_and_saveexec_b64 s[10:11], vcc
	s_xor_b64 s[10:11], exec, s[10:11]
; %bb.12:
                                        ; implicit-def: $vgpr4
; %bb.13:
	s_or_saveexec_b64 s[10:11], s[10:11]
	v_mov_b32_e32 v47, 16
	s_xor_b64 exec, exec, s[10:11]
; %bb.14:
	v_sub_u32_e32 v0, v16, v4
	v_cmp_lt_i32_e32 vcc, v61, v0
	v_cndmask_b32_e64 v47, 32, 0, vcc
; %bb.15:
	s_or_b64 exec, exec, s[10:11]
.LBB2_16:
	s_andn2_saveexec_b64 s[4:5], s[4:5]
; %bb.17:
	v_mov_b32_e32 v47, 8
; %bb.18:
	s_or_b64 exec, exec, s[4:5]
.LBB2_19:
	s_or_b64 exec, exec, s[6:7]
	v_and_b32_e32 v0, 36, v47
	v_cmp_ne_u32_e32 vcc, 0, v0
	v_mov_b32_e32 v8, -1
	s_and_saveexec_b64 s[4:5], vcc
	s_cbranch_execz .LBB2_21
; %bb.20:
	s_trap 2
	ds_read_b32 v8, v0
.LBB2_21:
	s_or_b64 exec, exec, s[4:5]
	v_and_b32_e32 v0, 24, v47
	v_cmp_ne_u32_e64 s[4:5], 0, v0
	s_and_saveexec_b64 s[6:7], s[4:5]
	s_cbranch_execz .LBB2_23
; %bb.22:
	s_trap 2
	s_waitcnt lgkmcnt(0)
	ds_read_b32 v8, v0
.LBB2_23:
	s_or_b64 exec, exec, s[6:7]
	s_waitcnt vmcnt(0)
	v_lshrrev_b64 v[4:5], 31, v[6:7]
	v_mov_b32_e32 v14, 0
	v_mov_b32_e32 v34, 0
	;; [unrolled: 1-line block ×3, first 2 shown]
	v_and_b32_e32 v4, 3, v4
	v_mov_b32_e32 v35, 0
	s_waitcnt lgkmcnt(0)
	v_ashrrev_i32_e32 v9, 31, v8
                                        ; implicit-def: $vgpr5_vgpr6
                                        ; kill: killed $vgpr5_vgpr6
                                        ; implicit-def: $vgpr56
                                        ; implicit-def: $vgpr38_vgpr39
                                        ; implicit-def: $vgpr22_vgpr23
                                        ; implicit-def: $vgpr26_vgpr27
                                        ; implicit-def: $vgpr20_vgpr21
	s_and_saveexec_b64 s[4:5], vcc
	s_cbranch_execz .LBB2_33
; %bb.24:
	s_trap 2
	ds_read_b64 v[5:6], v0
	v_lshlrev_b64 v[14:15], 3, v[8:9]
	v_and_b32_e32 v0, 0xffff, v4
	s_movk_i32 s6, 0xa8
	s_waitcnt lgkmcnt(0)
	v_add_co_u32_e32 v5, vcc, v5, v14
	v_addc_co_u32_e32 v6, vcc, v6, v15, vcc
	flat_load_dwordx2 v[5:6], v[5:6]
	s_waitcnt vmcnt(0) lgkmcnt(0)
	v_mad_u64_u32 v[24:25], s[6:7], v0, s6, v[5:6]
                                        ; implicit-def: $vgpr5_vgpr6
                                        ; kill: killed $vgpr5_vgpr6
	flat_load_dword v0, v[24:25] offset:640
	s_waitcnt vmcnt(0) lgkmcnt(0)
	v_cmp_eq_u32_e32 vcc, 1, v0
	s_and_saveexec_b64 s[6:7], vcc
	s_cbranch_execz .LBB2_26
; %bb.25:
	flat_load_dwordx2 v[14:15], v[24:25] offset:648
	v_or_b32_e32 v47, 0x2000, v47
	s_waitcnt vmcnt(0) lgkmcnt(0)
	flat_load_dwordx2 v[5:6], v[14:15]
	s_trap 2
	s_waitcnt vmcnt(0) lgkmcnt(0)
	ds_write_b64 v0, v[5:6]
	flat_load_dwordx2 v[5:6], v[14:15] offset:8
	s_waitcnt vmcnt(0) lgkmcnt(0)
	ds_write_b64 v0, v[5:6]
	buffer_store_dword v14, off, s[0:3], s33 offset:244 ; 4-byte Folded Spill
	s_nop 0
	buffer_store_dword v15, off, s[0:3], s33 offset:248 ; 4-byte Folded Spill
	flat_load_dwordx2 v[5:6], v[14:15] offset:16
	s_waitcnt vmcnt(0) lgkmcnt(0)
	ds_write_b64 v0, v[5:6]
.LBB2_26:
	s_or_b64 exec, exec, s[6:7]
	flat_load_dwordx2 v[5:6], v[24:25] offset:608
	v_and_b32_e32 v0, 32, v47
                                        ; implicit-def: $vgpr20_vgpr21
	s_waitcnt vmcnt(0) lgkmcnt(0)
	v_add_co_u32_e32 v5, vcc, 3, v5
	v_addc_co_u32_e32 v39, vcc, 0, v6, vcc
	v_and_b32_e32 v38, -4, v5
	v_cmp_ne_u32_e32 vcc, 0, v0
	s_and_saveexec_b64 s[6:7], vcc
	s_cbranch_execz .LBB2_28
; %bb.27:
	flat_load_dwordx2 v[20:21], v[24:25] offset:560
	s_waitcnt vmcnt(0) lgkmcnt(0)
	flat_store_dwordx2 v[20:21], v[38:39]
.LBB2_28:
	s_or_b64 exec, exec, s[6:7]
	v_add_co_u32_e32 v14, vcc, 0x1f8, v24
	v_addc_co_u32_e32 v15, vcc, 0, v25, vcc
	v_and_b32_e32 v0, 4, v47
	v_mov_b32_e32 v34, 0
	v_mov_b32_e32 v35, 0
	v_cmp_ne_u32_e32 vcc, 0, v0
                                        ; implicit-def: $vgpr56
                                        ; implicit-def: $vgpr22_vgpr23
                                        ; implicit-def: $vgpr26_vgpr27
	s_and_saveexec_b64 s[6:7], vcc
	s_cbranch_execz .LBB2_32
; %bb.29:
	v_and_b32_e32 v0, 0x800, v47
	v_cmp_eq_u32_e32 vcc, 0, v0
	s_and_saveexec_b64 s[10:11], vcc
	s_cbranch_execz .LBB2_31
; %bb.30:
	s_trap 2
	ds_write_b64 v0, v[14:15]
.LBB2_31:
	s_or_b64 exec, exec, s[10:11]
	flat_load_dwordx2 v[20:21], v[24:25] offset:552
	v_or_b32_e32 v0, 0x100, v47
	s_waitcnt vmcnt(0) lgkmcnt(0)
	flat_load_dwordx2 v[26:27], v[20:21] glc
	flat_load_dwordx2 v[34:35], v[24:25] offset:600
	flat_load_dword v56, v[24:25] offset:576
	flat_load_dwordx2 v[22:23], v[24:25] offset:520
	s_waitcnt vmcnt(0) lgkmcnt(0)
	v_cmp_eq_u64_e32 vcc, 0, v[34:35]
	v_cndmask_b32_e32 v47, v0, v47, vcc
.LBB2_32:
	s_or_b64 exec, exec, s[6:7]
.LBB2_33:
	s_or_b64 exec, exec, s[4:5]
	v_and_b32_e32 v0, 24, v47
	v_cmp_ne_u32_e32 vcc, 0, v0
                                        ; implicit-def: $vgpr24_vgpr25
	s_and_saveexec_b64 s[4:5], vcc
	s_cbranch_execz .LBB2_41
; %bb.34:
	s_trap 2
	ds_read_b64 v[5:6], v0
	v_lshlrev_b64 v[7:8], 3, v[8:9]
	v_and_b32_e32 v0, 0xffff, v4
	s_movk_i32 s6, 0xa8
                                        ; implicit-def: $vgpr24_vgpr25
	s_waitcnt lgkmcnt(0)
	v_add_co_u32_e32 v5, vcc, v5, v7
	v_addc_co_u32_e32 v6, vcc, v6, v8, vcc
	flat_load_dwordx2 v[5:6], v[5:6]
	s_waitcnt vmcnt(0) lgkmcnt(0)
	v_mad_u64_u32 v[14:15], s[6:7], v0, s6, v[5:6]
	v_or_b32_e32 v0, 0x100, v47
	flat_load_dwordx4 v[34:37], v[14:15] offset:96
	s_waitcnt vmcnt(0) lgkmcnt(0)
	v_cmp_eq_u64_e32 vcc, 0, v[34:35]
	v_cndmask_b32_e32 v47, v0, v47, vcc
	v_and_b32_e32 v0, 16, v47
	v_cmp_ne_u32_e32 vcc, 0, v0
	s_and_saveexec_b64 s[6:7], vcc
	s_cbranch_execz .LBB2_36
; %bb.35:
	flat_load_dwordx2 v[20:21], v[14:15] offset:48
	flat_load_dwordx2 v[24:25], v[14:15] offset:120
	;; [unrolled: 1-line block ×3, first 2 shown]
.LBB2_36:
	s_or_b64 exec, exec, s[6:7]
	v_add_co_u32_e32 v0, vcc, 3, v36
	v_addc_co_u32_e32 v39, vcc, 0, v37, vcc
	v_and_b32_e32 v38, -4, v0
	v_and_b32_e32 v0, 8, v47
	v_cmp_ne_u32_e32 vcc, 0, v0
	s_and_saveexec_b64 s[6:7], vcc
	s_cbranch_execz .LBB2_40
; %bb.37:
	v_and_b32_e32 v0, 0x800, v47
	v_cmp_eq_u32_e32 vcc, 0, v0
	s_and_saveexec_b64 s[10:11], vcc
	s_cbranch_execz .LBB2_39
; %bb.38:
	s_trap 2
	ds_write_b64 v0, v[14:15]
.LBB2_39:
	s_or_b64 exec, exec, s[10:11]
	s_waitcnt vmcnt(0) lgkmcnt(0)
	flat_load_dwordx2 v[20:21], v[14:15] offset:56
	s_waitcnt vmcnt(0) lgkmcnt(0)
	flat_load_dwordx2 v[26:27], v[20:21] glc
	flat_load_dword v56, v[14:15] offset:72
	flat_load_dwordx2 v[22:23], v[14:15] offset:16
.LBB2_40:
	s_or_b64 exec, exec, s[6:7]
.LBB2_41:
	s_or_b64 exec, exec, s[4:5]
	v_cmp_eq_u32_e64 s[4:5], 0, v61
	s_and_saveexec_b64 s[6:7], s[4:5]
	s_cbranch_execz .LBB2_43
; %bb.42:
	flat_load_dwordx2 v[4:5], v[2:3] offset:32
	v_mov_b32_e32 v6, v12
	v_mov_b32_e32 v7, v13
	;; [unrolled: 1-line block ×4, first 2 shown]
	ds_write2_b64 v0, v[6:7], v[8:9] offset1:1
	s_trap 2
	s_waitcnt vmcnt(0) lgkmcnt(0)
	ds_write_b64 v0, v[4:5]
	ds_write_b64 v0, v[29:30]
.LBB2_43:
	s_or_b64 exec, exec, s[6:7]
	buffer_load_dword v4, off, s[0:3], s33 offset:184 ; 4-byte Folded Reload
	buffer_load_dword v5, off, s[0:3], s33 offset:188 ; 4-byte Folded Reload
	;; [unrolled: 1-line block ×4, first 2 shown]
	v_mov_b32_e32 v12, 0
	v_mov_b32_e32 v13, 0
	s_waitcnt vmcnt(0)
	v_cmp_lt_i64_e32 vcc, 0, v[4:5]
	s_and_saveexec_b64 s[46:47], vcc
	s_cbranch_execz .LBB2_1215
; %bb.44:
	buffer_store_dword v14, off, s[0:3], s33 offset:236 ; 4-byte Folded Spill
	s_nop 0
	buffer_store_dword v15, off, s[0:3], s33 offset:240 ; 4-byte Folded Spill
	flat_load_dword v3, v[2:3] offset:4
	v_mov_b32_e32 v2, 0
	v_and_b32_e32 v9, 0x3ffffe00, v28
	v_mov_b32_e32 v10, v2
	buffer_store_dword v31, off, s[0:3], s33 offset:228 ; 4-byte Folded Spill
	s_trap 2
	buffer_store_dword v17, off, s[0:3], s33 offset:232 ; 4-byte Folded Spill
	buffer_store_dword v16, off, s[0:3], s33 offset:224 ; 4-byte Folded Spill
	buffer_store_dword v9, off, s[0:3], s33 offset:108 ; 4-byte Folded Spill
	s_nop 0
	buffer_store_dword v10, off, s[0:3], s33 offset:112 ; 4-byte Folded Spill
	v_and_b32_e32 v58, 63, v61
	v_and_b32_e32 v60, 0x3fc0, v16
	;; [unrolled: 1-line block ×3, first 2 shown]
	v_lshrrev_b32_e32 v5, 6, v61
	v_cmp_lt_u32_e64 s[20:21], v58, v1
	v_lshlrev_b32_e32 v0, 4, v58
	v_cmp_le_u32_e64 s[22:23], v58, v1
	v_subrev_u32_e32 v1, 64, v60
	v_mov_b32_e32 v6, v2
	buffer_store_dword v5, off, s[0:3], s33 offset:92 ; 4-byte Folded Spill
	v_lshl_or_b32 v5, v5, 11, v0
	buffer_store_dword v5, off, s[0:3], s33 offset:120 ; 4-byte Folded Spill
	s_nop 0
	buffer_store_dword v6, off, s[0:3], s33 offset:124 ; 4-byte Folded Spill
	s_ashr_i32 s53, s52, 31
	s_add_u32 s80, s52, -1
	s_addc_u32 s81, s53, -1
	s_add_i32 s82, s52, s52
	s_not_b32 s28, s52
	s_cmp_gt_i32 s52, 0
	v_lshrrev_b32_e32 v57, 6, v16
	v_lshlrev_b32_e32 v14, 10, v57
	v_cmp_ge_u32_e32 vcc, v61, v16
	s_movk_i32 s27, 0x400
	v_add_u32_e32 v33, 0xfffffc00, v14
	s_waitcnt lgkmcnt(0)
	v_cmp_eq_u64_e64 s[12:13], 0, v[24:25]
	v_cmp_ne_u64_e64 s[14:15], 0, v[24:25]
	v_mov_b32_e32 v7, 0
	v_mov_b32_e32 v12, 0
	v_ashrrev_i32_e32 v0, 31, v33
	v_ashrrev_i32_e32 v59, 31, v56
	v_cmp_eq_u32_e64 s[6:7], 64, v16
	v_cmp_ne_u32_e64 s[10:11], 64, v16
	v_cmp_ne_u32_sdwa s[56:57], v16, v17 src0_sel:DWORD src1_sel:WORD_0
	s_mov_b64 s[58:59], 0
	v_lshlrev_b32_e32 v46, 4, v61
	v_mov_b32_e32 v62, 1
	s_movk_i32 s54, 0xffc0
	s_movk_i32 s55, 0x108
	s_mov_b32 s64, 0x7020500
	s_movk_i32 s65, 0xfe40
	s_movk_i32 s66, 0xfe80
	s_movk_i32 s67, 0xfec0
	s_movk_i32 s68, 0xff00
	s_movk_i32 s69, 0xff40
	s_movk_i32 s70, 0xff80
	s_mov_b32 s71, 0xc0c0500
	v_mov_b32_e32 v43, 0xc8
	v_mov_b32_e32 v19, 0x90
	v_mov_b32_e32 v42, 0xd0
	v_mov_b32_e32 v8, 0
	v_mov_b32_e32 v13, 0
	v_cmp_eq_u32_e64 s[18:19], 0, v58
	v_lshlrev_b32_e32 v49, 11, v57
	v_lshlrev_b32_e32 v15, 9, v57
	v_mad_i64_i32 v[9:10], s[16:17], v9, s52, 0
	v_cmp_eq_u32_e64 s[16:17], 0, v4
	v_ashrrev_i32_e32 v4, 31, v1
	v_add_co_u32_e64 v1, s[24:25], 64, v1
	buffer_store_dword v1, off, s[0:3], s33 offset:64 ; 4-byte Folded Spill
	buffer_store_dword v4, off, s[0:3], s33 offset:60 ; 4-byte Folded Spill
	buffer_store_dword v61, off, s[0:3], s33 offset:136 ; 4-byte Folded Spill
	v_addc_co_u32_e64 v32, s[24:25], 0, v4, s[24:25]
	s_waitcnt vmcnt(0)
	v_and_b32_e32 v1, 1, v3
	buffer_load_dword v3, off, s[0:3], s33 offset:184 ; 4-byte Folded Reload
	buffer_load_dword v4, off, s[0:3], s33 offset:188 ; 4-byte Folded Reload
	;; [unrolled: 1-line block ×4, first 2 shown]
	s_cselect_b32 s24, s28, -1
	s_ashr_i32 s25, s26, 31
	s_add_i32 s83, s24, s82
	s_lshr_b32 s24, s25, 25
	s_add_i32 s26, s26, s24
	s_ashr_i32 s84, s83, 31
	s_ashr_i32 s85, s26, 7
	s_cmp_gt_i32 s52, 2
	v_cmp_eq_u32_e64 s[24:25], 1, v1
	s_cselect_b64 s[60:61], -1, 0
	s_add_i32 s26, s52, 1
	s_xor_b64 s[62:63], s[24:25], -1
	s_cmp_ge_i32 s26, s52
	s_cselect_b32 s28, s52, 0
	s_xor_b64 s[72:73], vcc, -1
	s_sub_i32 s87, s26, s28
	v_add_co_u32_e32 v28, vcc, s27, v33
	s_waitcnt vmcnt(0)
	v_mov_b32_e32 v5, v34
	s_add_i32 s86, s52, -2
	s_ashr_i32 s74, s53, 31
	s_ashr_i32 s96, s87, 31
	v_addc_co_u32_e32 v29, vcc, 0, v0, vcc
	v_mov_b32_e32 v6, v35
	buffer_store_dword v5, off, s[0:3], s33 offset:76 ; 4-byte Folded Spill
	s_nop 0
	buffer_store_dword v6, off, s[0:3], s33 offset:80 ; 4-byte Folded Spill
	buffer_store_dword v7, off, s[0:3], s33 offset:84 ; 4-byte Folded Spill
	;; [unrolled: 1-line block ×6, first 2 shown]
	s_nop 0
	buffer_store_dword v10, off, s[0:3], s33 offset:212 ; 4-byte Folded Spill
	s_branch .LBB2_47
.LBB2_45:                               ;   in Loop: Header=BB2_47 Depth=1
	s_or_b64 exec, exec, s[40:41]
.LBB2_46:                               ;   in Loop: Header=BB2_47 Depth=1
	s_or_b64 exec, exec, s[28:29]
	buffer_load_dword v7, off, s[0:3], s33 offset:160 ; 4-byte Folded Reload
	buffer_load_dword v8, off, s[0:3], s33 offset:164 ; 4-byte Folded Reload
	;; [unrolled: 1-line block ×8, first 2 shown]
	s_waitcnt vmcnt(0)
	v_add_co_u32_e32 v7, vcc, v7, v9
	v_addc_co_u32_e32 v8, vcc, v8, v10, vcc
	v_cmp_ge_i64_e32 vcc, v[7:8], v[3:4]
	s_or_b64 s[58:59], vcc, s[58:59]
	s_andn2_b64 exec, exec, s[58:59]
	s_cbranch_execz .LBB2_1214
.LBB2_47:                               ; =>This Loop Header: Depth=1
                                        ;     Child Loop BB2_57 Depth 2
                                        ;       Child Loop BB2_65 Depth 3
                                        ;       Child Loop BB2_89 Depth 3
	;; [unrolled: 1-line block ×9, first 2 shown]
                                        ;     Child Loop BB2_197 Depth 2
                                        ;       Child Loop BB2_203 Depth 3
                                        ;       Child Loop BB2_227 Depth 3
	;; [unrolled: 1-line block ×3, first 2 shown]
                                        ;     Child Loop BB2_269 Depth 2
                                        ;       Child Loop BB2_272 Depth 3
                                        ;         Child Loop BB2_280 Depth 4
                                        ;         Child Loop BB2_308 Depth 4
	;; [unrolled: 1-line block ×9, first 2 shown]
                                        ;       Child Loop BB2_416 Depth 3
                                        ;         Child Loop BB2_422 Depth 4
                                        ;         Child Loop BB2_450 Depth 4
	;; [unrolled: 1-line block ×3, first 2 shown]
                                        ;     Child Loop BB2_491 Depth 2
                                        ;       Child Loop BB2_499 Depth 3
                                        ;       Child Loop BB2_527 Depth 3
	;; [unrolled: 1-line block ×4, first 2 shown]
                                        ;         Child Loop BB2_572 Depth 4
                                        ;       Child Loop BB2_578 Depth 3
                                        ;         Child Loop BB2_579 Depth 4
                                        ;       Child Loop BB2_587 Depth 3
                                        ;       Child Loop BB2_592 Depth 3
                                        ;         Child Loop BB2_593 Depth 4
                                        ;       Child Loop BB2_605 Depth 3
                                        ;       Child Loop BB2_610 Depth 3
	;; [unrolled: 1-line block ×6, first 2 shown]
                                        ;     Child Loop BB2_674 Depth 2
                                        ;       Child Loop BB2_680 Depth 3
                                        ;       Child Loop BB2_708 Depth 3
	;; [unrolled: 1-line block ×3, first 2 shown]
                                        ;     Child Loop BB2_750 Depth 2
                                        ;       Child Loop BB2_753 Depth 3
                                        ;         Child Loop BB2_761 Depth 4
                                        ;         Child Loop BB2_789 Depth 4
	;; [unrolled: 1-line block ×4, first 2 shown]
                                        ;           Child Loop BB2_832 Depth 5
                                        ;         Child Loop BB2_838 Depth 4
                                        ;           Child Loop BB2_839 Depth 5
                                        ;         Child Loop BB2_846 Depth 4
                                        ;         Child Loop BB2_851 Depth 4
                                        ;           Child Loop BB2_852 Depth 5
                                        ;         Child Loop BB2_864 Depth 4
                                        ;         Child Loop BB2_869 Depth 4
	;; [unrolled: 1-line block ×6, first 2 shown]
                                        ;       Child Loop BB2_931 Depth 3
                                        ;         Child Loop BB2_937 Depth 4
                                        ;         Child Loop BB2_965 Depth 4
	;; [unrolled: 1-line block ×3, first 2 shown]
                                        ;     Child Loop BB2_1010 Depth 2
                                        ;       Child Loop BB2_1018 Depth 3
                                        ;       Child Loop BB2_1042 Depth 3
	;; [unrolled: 1-line block ×9, first 2 shown]
                                        ;     Child Loop BB2_1148 Depth 2
                                        ;       Child Loop BB2_1154 Depth 3
                                        ;       Child Loop BB2_1178 Depth 3
	;; [unrolled: 1-line block ×3, first 2 shown]
	buffer_store_dword v7, off, s[0:3], s33 offset:160 ; 4-byte Folded Spill
	s_nop 0
	buffer_store_dword v8, off, s[0:3], s33 offset:164 ; 4-byte Folded Spill
	v_sub_co_u32_e32 v3, vcc, v3, v7
	v_subb_co_u32_e32 v4, vcc, v4, v8, vcc
	buffer_store_dword v3, off, s[0:3], s33 offset:100 ; 4-byte Folded Spill
	s_nop 0
	buffer_store_dword v4, off, s[0:3], s33 offset:104 ; 4-byte Folded Spill
	v_cmp_lt_i64_e32 vcc, v[3:4], v[9:10]
	s_and_saveexec_b64 s[28:29], vcc
	s_cbranch_execz .LBB2_53
; %bb.48:                               ;   in Loop: Header=BB2_47 Depth=1
	buffer_load_dword v4, off, s[0:3], s33 offset:100 ; 4-byte Folded Reload
	buffer_load_dword v5, off, s[0:3], s33 offset:104 ; 4-byte Folded Reload
	v_mov_b32_e32 v3, s81
                                        ; implicit-def: $vgpr8_vgpr9
	s_waitcnt vmcnt(0)
	v_add_co_u32_e32 v1, vcc, s80, v4
	s_waitcnt vmcnt(0)
	v_addc_co_u32_e32 v10, vcc, v3, v5, vcc
	v_or_b32_e32 v3, s53, v10
	v_cmp_ne_u64_e32 vcc, 0, v[2:3]
	s_and_saveexec_b64 s[26:27], vcc
	s_xor_b64 s[40:41], exec, s[26:27]
	s_cbranch_execz .LBB2_50
; %bb.49:                               ;   in Loop: Header=BB2_47 Depth=1
	s_add_u32 s26, s52, s74
	s_mov_b32 s75, s74
	s_addc_u32 s27, s53, s74
	s_xor_b64 s[42:43], s[26:27], s[74:75]
	v_cvt_f32_u32_e32 v3, s42
	v_cvt_f32_u32_e32 v4, s43
	s_sub_u32 s75, 0, s42
	s_subb_u32 s76, 0, s43
	v_ashrrev_i32_e32 v7, 31, v10
	v_mac_f32_e32 v3, 0x4f800000, v4
	v_rcp_f32_e32 v3, v3
	v_add_co_u32_e32 v1, vcc, v1, v7
	v_xor_b32_e32 v1, v1, v7
	v_mul_f32_e32 v3, 0x5f7ffffc, v3
	v_mul_f32_e32 v4, 0x2f800000, v3
	v_trunc_f32_e32 v4, v4
	v_mac_f32_e32 v3, 0xcf800000, v4
	v_cvt_u32_f32_e32 v4, v4
	v_cvt_u32_f32_e32 v3, v3
	v_addc_co_u32_e32 v5, vcc, v10, v7, vcc
	v_readfirstlane_b32 s77, v4
	v_readfirstlane_b32 s26, v3
	s_mul_i32 s27, s75, s77
	s_mul_hi_u32 s79, s75, s26
	s_mul_i32 s78, s76, s26
	s_add_i32 s27, s79, s27
	s_add_i32 s27, s27, s78
	s_mul_i32 s88, s75, s26
	s_mul_i32 s79, s26, s27
	s_mul_hi_u32 s89, s26, s88
	s_mul_hi_u32 s78, s26, s27
	s_add_u32 s79, s89, s79
	s_addc_u32 s78, 0, s78
	s_mul_hi_u32 s90, s77, s88
	s_mul_i32 s88, s77, s88
	s_add_u32 s79, s79, s88
	s_mul_hi_u32 s89, s77, s27
	s_addc_u32 s78, s78, s90
	s_addc_u32 s79, s89, 0
	s_mul_i32 s27, s77, s27
	s_add_u32 s27, s78, s27
	s_addc_u32 s78, 0, s79
	s_add_u32 s79, s26, s27
	s_cselect_b64 s[26:27], -1, 0
	s_cmp_lg_u64 s[26:27], 0
	s_addc_u32 s77, s77, s78
	s_mul_i32 s26, s75, s77
	s_mul_hi_u32 s27, s75, s79
	s_add_i32 s26, s27, s26
	s_mul_i32 s76, s76, s79
	s_add_i32 s26, s26, s76
	s_mul_i32 s75, s75, s79
	s_mul_hi_u32 s76, s77, s75
	s_mul_i32 s78, s77, s75
	s_mul_i32 s89, s79, s26
	s_mul_hi_u32 s75, s79, s75
	s_mul_hi_u32 s88, s79, s26
	s_add_u32 s75, s75, s89
	s_addc_u32 s88, 0, s88
	s_add_u32 s75, s75, s78
	s_mul_hi_u32 s27, s77, s26
	s_addc_u32 s75, s88, s76
	s_addc_u32 s27, s27, 0
	s_mul_i32 s26, s77, s26
	s_add_u32 s26, s75, s26
	s_addc_u32 s75, 0, s27
	s_add_u32 s76, s79, s26
	s_cselect_b64 s[26:27], -1, 0
	s_cmp_lg_u64 s[26:27], 0
	s_addc_u32 s75, s77, s75
	v_mad_u64_u32 v[3:4], s[26:27], v1, s75, 0
	v_mul_hi_u32 v6, v1, s76
	v_xor_b32_e32 v8, v5, v7
	v_add_co_u32_e32 v9, vcc, v6, v3
	v_addc_co_u32_e32 v10, vcc, 0, v4, vcc
	v_mad_u64_u32 v[3:4], s[26:27], v8, s76, 0
	v_mad_u64_u32 v[5:6], s[26:27], v8, s75, 0
	v_add_co_u32_e32 v3, vcc, v9, v3
	v_addc_co_u32_e32 v3, vcc, v10, v4, vcc
	v_addc_co_u32_e32 v4, vcc, 0, v6, vcc
	v_add_co_u32_e32 v5, vcc, v3, v5
	v_addc_co_u32_e32 v6, vcc, 0, v4, vcc
	v_mul_lo_u32 v9, s43, v5
	v_mul_lo_u32 v10, s42, v6
	v_mad_u64_u32 v[3:4], s[26:27], s42, v5, 0
	v_add3_u32 v4, v4, v10, v9
	v_sub_u32_e32 v9, v8, v4
	v_mov_b32_e32 v10, s43
	v_sub_co_u32_e32 v1, vcc, v1, v3
	v_subb_co_u32_e64 v3, s[26:27], v9, v10, vcc
	v_subrev_co_u32_e64 v9, s[26:27], s42, v1
	v_subbrev_co_u32_e64 v3, s[26:27], 0, v3, s[26:27]
	v_cmp_le_u32_e64 s[26:27], s43, v3
	v_cndmask_b32_e64 v10, 0, -1, s[26:27]
	v_cmp_le_u32_e64 s[26:27], s42, v9
	v_cndmask_b32_e64 v9, 0, -1, s[26:27]
	v_cmp_eq_u32_e64 s[26:27], s43, v3
	v_cndmask_b32_e64 v3, v10, v9, s[26:27]
	v_add_co_u32_e64 v9, s[26:27], 2, v5
	v_subb_co_u32_e32 v4, vcc, v8, v4, vcc
	v_addc_co_u32_e64 v10, s[26:27], 0, v6, s[26:27]
	v_cmp_le_u32_e32 vcc, s43, v4
	v_add_co_u32_e64 v11, s[26:27], 1, v5
	v_cndmask_b32_e64 v8, 0, -1, vcc
	v_cmp_le_u32_e32 vcc, s42, v1
	v_addc_co_u32_e64 v16, s[26:27], 0, v6, s[26:27]
	v_cndmask_b32_e64 v1, 0, -1, vcc
	v_cmp_eq_u32_e32 vcc, s43, v4
	v_cmp_ne_u32_e64 s[26:27], 0, v3
	v_cndmask_b32_e32 v1, v8, v1, vcc
	v_cndmask_b32_e64 v3, v16, v10, s[26:27]
	v_cmp_ne_u32_e32 vcc, 0, v1
	v_cndmask_b32_e32 v1, v6, v3, vcc
	v_cndmask_b32_e64 v3, v11, v9, s[26:27]
	v_cndmask_b32_e32 v3, v5, v3, vcc
	v_xor_b32_e32 v4, s74, v7
	v_xor_b32_e32 v3, v3, v4
	;; [unrolled: 1-line block ×3, first 2 shown]
	v_sub_co_u32_e32 v8, vcc, v3, v4
	v_subb_co_u32_e32 v9, vcc, v1, v4, vcc
                                        ; implicit-def: $vgpr1
.LBB2_50:                               ;   in Loop: Header=BB2_47 Depth=1
	s_andn2_saveexec_b64 s[26:27], s[40:41]
	s_cbranch_execz .LBB2_52
; %bb.51:                               ;   in Loop: Header=BB2_47 Depth=1
	v_cvt_f32_u32_e32 v3, s52
	s_sub_i32 s40, 0, s52
	v_mov_b32_e32 v9, v2
	v_rcp_iflag_f32_e32 v3, v3
	v_mul_f32_e32 v3, 0x4f7ffffe, v3
	v_cvt_u32_f32_e32 v3, v3
	v_mul_lo_u32 v4, s40, v3
	v_mul_hi_u32 v4, v3, v4
	v_add_u32_e32 v3, v3, v4
	v_mul_hi_u32 v3, v1, v3
	v_mul_lo_u32 v4, v3, s52
	v_add_u32_e32 v5, 1, v3
	v_sub_u32_e32 v1, v1, v4
	v_subrev_u32_e32 v4, s52, v1
	v_cmp_le_u32_e32 vcc, s52, v1
	v_cndmask_b32_e32 v1, v1, v4, vcc
	v_cndmask_b32_e32 v3, v3, v5, vcc
	v_add_u32_e32 v4, 1, v3
	v_cmp_le_u32_e32 vcc, s52, v1
	v_cndmask_b32_e32 v8, v3, v4, vcc
.LBB2_52:                               ;   in Loop: Header=BB2_47 Depth=1
	s_or_b64 exec, exec, s[26:27]
	v_add_co_u32_e32 v1, vcc, 15, v8
	v_addc_co_u32_e32 v4, vcc, 0, v9, vcc
	v_and_b32_e32 v3, -16, v1
	buffer_store_dword v3, off, s[0:3], s33 offset:108 ; 4-byte Folded Spill
	s_nop 0
	buffer_store_dword v4, off, s[0:3], s33 offset:112 ; 4-byte Folded Spill
.LBB2_53:                               ;   in Loop: Header=BB2_47 Depth=1
	s_or_b64 exec, exec, s[28:29]
	buffer_load_dword v7, off, s[0:3], s33 offset:108 ; 4-byte Folded Reload
	buffer_load_dword v8, off, s[0:3], s33 offset:112 ; 4-byte Folded Reload
	v_mov_b32_e32 v40, 0
	s_waitcnt vmcnt(0)
	v_mul_lo_u32 v3, v7, s84
	s_waitcnt vmcnt(0)
	v_mul_lo_u32 v1, v8, s83
	v_mad_u64_u32 v[10:11], s[26:27], v7, s83, 0
	v_add3_u32 v11, v11, v3, v1
	buffer_load_dword v3, off, s[0:3], s33 offset:200 ; 4-byte Folded Reload
	buffer_load_dword v4, off, s[0:3], s33 offset:204 ; 4-byte Folded Reload
	;; [unrolled: 1-line block ×4, first 2 shown]
	s_waitcnt vmcnt(0)
	v_add_co_u32_e32 v1, vcc, v5, v3
	buffer_store_dword v1, off, s[0:3], s33 offset:68 ; 4-byte Folded Spill
	s_waitcnt vmcnt(1)
	v_addc_co_u32_e32 v1, vcc, v6, v4, vcc
	buffer_store_dword v1, off, s[0:3], s33 offset:72 ; 4-byte Folded Spill
	buffer_load_dword v3, off, s[0:3], s33 offset:100 ; 4-byte Folded Reload
	buffer_load_dword v4, off, s[0:3], s33 offset:104 ; 4-byte Folded Reload
	s_waitcnt vmcnt(0)
	v_sub_co_u32_e32 v3, vcc, v3, v10
	s_waitcnt vmcnt(0)
	v_subb_co_u32_e32 v4, vcc, v4, v11, vcc
	v_cmp_lt_i64_e32 vcc, v[7:8], v[3:4]
	v_cndmask_b32_e32 v4, v3, v7, vcc
	v_max_i32_e32 v1, 0, v4
	v_add_u32_e32 v5, 31, v1
	v_lshrrev_b32_e32 v5, 1, v5
	v_and_b32_e32 v5, 0x3ffffff0, v5
	v_cmp_lt_i32_e32 vcc, 0, v4
	v_mov_b32_e32 v3, 0
	v_max_i32_e32 v8, s85, v5
	s_and_b64 s[26:27], s[72:73], vcc
	s_and_saveexec_b64 s[28:29], s[26:27]
	s_cbranch_execz .LBB2_193
; %bb.54:                               ;   in Loop: Header=BB2_47 Depth=1
	s_mov_b32 s75, 1
	s_mov_b64 s[42:43], -1
	v_mov_b32_e32 v40, 0
	s_mov_b64 s[40:41], 0
	s_branch .LBB2_57
.LBB2_55:                               ;   in Loop: Header=BB2_57 Depth=2
	s_or_b64 exec, exec, s[76:77]
	v_add_co_u32_e32 v38, vcc, 2, v38
	v_addc_co_u32_e32 v39, vcc, 0, v39, vcc
	flat_store_dwordx2 v[20:21], v[38:39]
.LBB2_56:                               ;   in Loop: Header=BB2_57 Depth=2
	s_or_b64 exec, exec, s[26:27]
	v_add_u32_e32 v40, v8, v40
	v_cmp_ge_i32_e32 vcc, v40, v1
	s_xor_b64 s[26:27], s[42:43], -1
	s_or_b64 s[26:27], s[26:27], vcc
	s_and_b64 s[26:27], exec, s[26:27]
	s_or_b64 s[40:41], s[26:27], s[40:41]
	s_mov_b64 s[42:43], 0
	v_mov_b32_e32 v3, s75
	s_mov_b32 s75, 2
	s_andn2_b64 exec, exec, s[40:41]
	s_cbranch_execz .LBB2_192
.LBB2_57:                               ;   Parent Loop BB2_47 Depth=1
                                        ; =>  This Loop Header: Depth=2
                                        ;       Child Loop BB2_65 Depth 3
                                        ;       Child Loop BB2_89 Depth 3
	;; [unrolled: 1-line block ×9, first 2 shown]
	s_and_saveexec_b64 s[26:27], s[4:5]
	s_cbranch_execz .LBB2_59
; %bb.58:                               ;   in Loop: Header=BB2_57 Depth=2
	s_trap 2
	buffer_load_dword v5, off, s[0:3], s33 offset:68 ; 4-byte Folded Reload
	ds_read_b64 v[3:4], v0
	s_waitcnt vmcnt(0) lgkmcnt(0)
	v_add_co_u32_e32 v3, vcc, v3, v5
	buffer_load_dword v5, off, s[0:3], s33 offset:72 ; 4-byte Folded Reload
	s_waitcnt vmcnt(0)
	v_addc_co_u32_e32 v4, vcc, v4, v5, vcc
	v_add_co_u32_e32 v3, vcc, v3, v10
	v_addc_co_u32_e32 v4, vcc, v4, v11, vcc
	v_ashrrev_i32_e32 v5, 31, v40
	v_add_co_u32_e32 v3, vcc, v3, v40
	v_addc_co_u32_e32 v4, vcc, v4, v5, vcc
	ds_write_b64 v0, v[3:4]
	v_mov_b32_e32 v3, v2
	ds_write_b64 v0, v[2:3]
.LBB2_59:                               ;   in Loop: Header=BB2_57 Depth=2
	s_or_b64 exec, exec, s[26:27]
	v_sub_u32_e32 v3, v1, v40
	v_min_i32_e32 v8, v8, v3
	v_and_b32_e32 v3, 8, v47
	v_cmp_ne_u32_e32 vcc, 0, v3
	s_and_saveexec_b64 s[76:77], vcc
	s_cbranch_execz .LBB2_81
; %bb.60:                               ;   in Loop: Header=BB2_57 Depth=2
	s_waitcnt vmcnt(0) lgkmcnt(0)
	v_add_co_u32_e32 v3, vcc, 8, v26
	v_addc_co_u32_e32 v4, vcc, 0, v27, vcc
	v_add_co_u32_e32 v50, vcc, 2, v38
	v_addc_co_u32_e32 v51, vcc, 0, v39, vcc
	v_cmp_lt_u64_e32 vcc, v[3:4], v[50:51]
	s_and_saveexec_b64 s[78:79], vcc
	s_cbranch_execz .LBB2_72
; %bb.61:                               ;   in Loop: Header=BB2_57 Depth=2
	v_and_b32_e32 v3, 64, v47
	s_mov_b32 s50, 0
	v_cmp_eq_u32_e32 vcc, 0, v3
	s_mov_b64 s[88:89], 0
                                        ; implicit-def: $sgpr90_sgpr91
                                        ; implicit-def: $sgpr92_sgpr93
                                        ; implicit-def: $sgpr94_sgpr95
	s_branch .LBB2_65
.LBB2_62:                               ;   in Loop: Header=BB2_65 Depth=3
	s_waitcnt vmcnt(0) lgkmcnt(0)
	v_add_co_u32_e64 v4, s[26:27], 8, v26
	v_addc_co_u32_e64 v5, s[26:27], 0, v27, s[26:27]
	v_cmp_ge_u64_e64 s[26:27], v[4:5], v[50:51]
	s_or_b64 s[36:37], s[36:37], exec
	s_orn2_b64 s[34:35], s[26:27], exec
.LBB2_63:                               ;   in Loop: Header=BB2_65 Depth=3
	s_or_b64 exec, exec, s[48:49]
	s_andn2_b64 s[26:27], s[94:95], exec
	s_and_b64 s[94:95], s[36:37], exec
	s_or_b64 s[94:95], s[26:27], s[94:95]
	s_andn2_b64 s[26:27], s[92:93], exec
	s_and_b64 s[92:93], s[34:35], exec
	s_or_b64 s[92:93], s[26:27], s[92:93]
.LBB2_64:                               ;   in Loop: Header=BB2_65 Depth=3
	s_or_b64 exec, exec, s[30:31]
	s_and_b64 s[26:27], exec, s[92:93]
	s_or_b64 s[88:89], s[26:27], s[88:89]
	s_andn2_b64 s[26:27], s[90:91], exec
	s_and_b64 s[90:91], s[94:95], exec
	s_or_b64 s[90:91], s[26:27], s[90:91]
	s_andn2_b64 exec, exec, s[88:89]
	s_cbranch_execz .LBB2_69
.LBB2_65:                               ;   Parent Loop BB2_47 Depth=1
                                        ;     Parent Loop BB2_57 Depth=2
                                        ; =>    This Inner Loop Header: Depth=3
	s_sleep 1
	s_waitcnt vmcnt(0) lgkmcnt(0)
	flat_load_dwordx2 v[26:27], v[20:21] glc
	s_or_b64 s[94:95], s[94:95], exec
	s_or_b64 s[92:93], s[92:93], exec
                                        ; implicit-def: $vgpr3
	s_and_saveexec_b64 s[30:31], vcc
	s_cbranch_execz .LBB2_64
; %bb.66:                               ;   in Loop: Header=BB2_65 Depth=3
	s_cmpk_lt_i32 s50, 0x270f
	s_cselect_b64 s[38:39], -1, 0
	s_cmpk_gt_i32 s50, 0x270e
	s_mov_b64 s[34:35], -1
	s_cbranch_scc0 .LBB2_68
; %bb.67:                               ;   in Loop: Header=BB2_65 Depth=3
	s_trap 2
	ds_read_b64 v[3:4], v0
	s_andn2_b64 s[38:39], s[38:39], exec
	s_mov_b32 s50, 0
	s_mov_b64 s[36:37], 0
	s_waitcnt vmcnt(0) lgkmcnt(0)
	flat_load_dword v3, v[3:4] glc
	s_waitcnt vmcnt(0) lgkmcnt(0)
	buffer_wbinvl1_vol
	v_cmp_eq_u32_e64 s[26:27], 0, v3
	s_and_b64 s[26:27], s[26:27], exec
	s_or_b64 s[38:39], s[38:39], s[26:27]
	s_and_saveexec_b64 s[48:49], s[38:39]
	s_cbranch_execz .LBB2_63
	s_branch .LBB2_62
.LBB2_68:                               ;   in Loop: Header=BB2_65 Depth=3
	s_add_i32 s50, s50, 1
	s_mov_b64 s[36:37], -1
                                        ; implicit-def: $vgpr3
	s_and_saveexec_b64 s[48:49], s[38:39]
	s_cbranch_execz .LBB2_63
	s_branch .LBB2_62
.LBB2_69:                               ;   in Loop: Header=BB2_57 Depth=2
	s_or_b64 exec, exec, s[88:89]
	s_xor_b64 s[26:27], s[90:91], -1
	s_and_saveexec_b64 s[88:89], s[26:27]
	s_xor_b64 s[26:27], exec, s[88:89]
	s_cbranch_execz .LBB2_71
; %bb.70:                               ;   in Loop: Header=BB2_57 Depth=2
	v_or_b32_e32 v47, 64, v47
	s_waitcnt lgkmcnt(0)
	ds_write_b32 v0, v3
	s_trap 2
.LBB2_71:                               ;   in Loop: Header=BB2_57 Depth=2
	s_or_b64 exec, exec, s[26:27]
.LBB2_72:                               ;   in Loop: Header=BB2_57 Depth=2
	s_or_b64 exec, exec, s[78:79]
	v_and_b32_e32 v3, 0x100, v47
	v_cmp_ne_u32_e32 vcc, 0, v3
	v_and_b32_e32 v3, 7, v38
	s_mov_b64 s[26:27], -1
	;;#ASMSTART
	s_wakeup
	;;#ASMEND
                                        ; implicit-def: $vgpr38_vgpr39
	s_and_saveexec_b64 s[78:79], vcc
	s_cbranch_execz .LBB2_76
; %bb.73:                               ;   in Loop: Header=BB2_57 Depth=2
	v_mad_u64_u32 v[52:53], s[26:27], v3, 24, v[34:35]
	v_ashrrev_i32_e32 v9, 31, v8
                                        ; implicit-def: $vgpr38_vgpr39
	flat_load_dword v4, v[52:53]
	s_nop 0
	flat_store_dwordx2 v[52:53], v[8:9] offset:8
	s_waitcnt vmcnt(0) lgkmcnt(0)
	v_cmp_ne_u32_e32 vcc, 1, v4
	v_cmp_eq_u32_e64 s[26:27], 1, v4
	s_and_saveexec_b64 s[88:89], s[26:27]
	s_cbranch_execz .LBB2_75
; %bb.74:                               ;   in Loop: Header=BB2_57 Depth=2
	flat_load_dword v38, v[52:53] offset:4 glc
	s_waitcnt vmcnt(0) lgkmcnt(0)
	v_ashrrev_i32_e32 v39, 31, v38
.LBB2_75:                               ;   in Loop: Header=BB2_57 Depth=2
	s_or_b64 exec, exec, s[88:89]
	s_orn2_b64 s[26:27], vcc, exec
.LBB2_76:                               ;   in Loop: Header=BB2_57 Depth=2
	s_or_b64 exec, exec, s[78:79]
	s_and_saveexec_b64 s[78:79], s[26:27]
; %bb.77:                               ;   in Loop: Header=BB2_57 Depth=2
	v_mad_i64_i32 v[38:39], s[26:27], v3, v56, 0
; %bb.78:                               ;   in Loop: Header=BB2_57 Depth=2
	s_or_b64 exec, exec, s[78:79]
	v_add_co_u32_e32 v3, vcc, v22, v38
	v_addc_co_u32_e32 v4, vcc, v23, v39, vcc
	ds_write_b64 v0, v[3:4] offset:784
	v_and_b32_e32 v3, 0x2000, v47
	v_cmp_ne_u32_e32 vcc, 0, v3
	s_and_saveexec_b64 s[26:27], vcc
	s_cbranch_execz .LBB2_80
; %bb.79:                               ;   in Loop: Header=BB2_57 Depth=2
	ds_read_b64 v[3:4], v0 offset:872
	s_waitcnt lgkmcnt(0)
	v_add_co_u32_e32 v3, vcc, 1, v3
	v_addc_co_u32_e32 v4, vcc, 0, v4, vcc
	ds_write_b64 v0, v[3:4] offset:872
.LBB2_80:                               ;   in Loop: Header=BB2_57 Depth=2
	s_or_b64 exec, exec, s[26:27]
	v_mov_b32_e32 v38, v50
	v_mov_b32_e32 v39, v51
.LBB2_81:                               ;   in Loop: Header=BB2_57 Depth=2
	s_or_b64 exec, exec, s[76:77]
	s_and_saveexec_b64 s[26:27], s[10:11]
	s_cbranch_execz .LBB2_100
; %bb.82:                               ;   in Loop: Header=BB2_57 Depth=2
	s_and_saveexec_b64 s[76:77], s[56:57]
	s_xor_b64 s[76:77], exec, s[76:77]
	s_cbranch_execz .LBB2_97
; %bb.83:                               ;   in Loop: Header=BB2_57 Depth=2
	s_and_saveexec_b64 s[78:79], s[16:17]
	s_cbranch_execz .LBB2_96
; %bb.84:                               ;   in Loop: Header=BB2_57 Depth=2
	s_mov_b64 s[90:91], exec
	v_mbcnt_lo_u32_b32 v3, s90, 0
	v_mbcnt_hi_u32_b32 v3, s91, v3
	v_cmp_eq_u32_e32 vcc, 0, v3
	s_waitcnt vmcnt(0) lgkmcnt(0)
	buffer_wbinvl1_vol
	s_and_saveexec_b64 s[88:89], vcc
	s_cbranch_execz .LBB2_86
; %bb.85:                               ;   in Loop: Header=BB2_57 Depth=2
	s_bcnt1_i32_b64 s90, s[90:91]
	v_mov_b32_e32 v3, s90
	v_mov_b32_e32 v4, v2
	ds_add_u64 v0, v[3:4]
	s_trap 2
.LBB2_86:                               ;   in Loop: Header=BB2_57 Depth=2
	s_or_b64 exec, exec, s[88:89]
	s_trap 2
	ds_read_b64 v[3:4], v0
	s_waitcnt lgkmcnt(0)
	v_add_co_u32_e32 v12, vcc, v12, v57
	v_addc_co_u32_e32 v13, vcc, 0, v13, vcc
	v_cmp_lt_u64_e32 vcc, v[3:4], v[12:13]
	s_and_saveexec_b64 s[88:89], vcc
	s_cbranch_execz .LBB2_95
; %bb.87:                               ;   in Loop: Header=BB2_57 Depth=2
	s_mov_b32 s36, 0
	s_mov_b64 s[90:91], 0
                                        ; implicit-def: $sgpr92_sgpr93
                                        ; implicit-def: $sgpr94_sgpr95
	s_branch .LBB2_89
.LBB2_88:                               ;   in Loop: Header=BB2_89 Depth=3
	s_or_b64 exec, exec, s[34:35]
	s_and_b64 vcc, exec, vcc
	s_or_b64 s[90:91], vcc, s[90:91]
	s_andn2_b64 s[92:93], s[92:93], exec
	s_and_b64 vcc, s[94:95], exec
	s_or_b64 s[92:93], s[92:93], vcc
	s_andn2_b64 exec, exec, s[90:91]
	s_cbranch_execz .LBB2_93
.LBB2_89:                               ;   Parent Loop BB2_47 Depth=1
                                        ;     Parent Loop BB2_57 Depth=2
                                        ; =>    This Inner Loop Header: Depth=3
	s_add_i32 s36, s36, 1
	s_cmpk_lg_i32 s36, 0x2710
	s_cselect_b64 s[30:31], -1, 0
	s_and_b64 vcc, exec, s[30:31]
	s_cbranch_vccz .LBB2_91
; %bb.90:                               ;   in Loop: Header=BB2_89 Depth=3
	s_mov_b64 vcc, -1
	s_or_b64 s[94:95], s[94:95], exec
	s_and_saveexec_b64 s[34:35], s[30:31]
	s_cbranch_execz .LBB2_88
	s_branch .LBB2_92
.LBB2_91:                               ;   in Loop: Header=BB2_89 Depth=3
	s_trap 2
	ds_read_b64 v[3:4], v0
	s_andn2_b64 s[30:31], s[30:31], exec
	s_mov_b32 s36, 0
	s_waitcnt lgkmcnt(0)
	flat_load_dword v3, v[3:4] glc
	s_waitcnt vmcnt(0) lgkmcnt(0)
	buffer_wbinvl1_vol
	v_cmp_eq_u32_e32 vcc, 0, v3
	s_and_b64 vcc, vcc, exec
	s_or_b64 s[30:31], s[30:31], vcc
	s_mov_b64 vcc, -1
	s_or_b64 s[94:95], s[94:95], exec
	s_and_saveexec_b64 s[34:35], s[30:31]
	s_cbranch_execz .LBB2_88
.LBB2_92:                               ;   in Loop: Header=BB2_89 Depth=3
	s_sleep 1
	s_trap 2
	ds_read_b64 v[3:4], v0
	s_waitcnt lgkmcnt(0)
	s_andn2_b64 s[94:95], s[94:95], exec
	v_cmp_ge_u64_e32 vcc, v[3:4], v[12:13]
	s_orn2_b64 vcc, vcc, exec
	s_branch .LBB2_88
.LBB2_93:                               ;   in Loop: Header=BB2_57 Depth=2
	s_or_b64 exec, exec, s[90:91]
	s_and_saveexec_b64 s[90:91], s[92:93]
	s_xor_b64 s[90:91], exec, s[90:91]
	s_cbranch_execz .LBB2_95
; %bb.94:                               ;   in Loop: Header=BB2_57 Depth=2
	ds_write_b32 v0, v62
	s_trap 2
.LBB2_95:                               ;   in Loop: Header=BB2_57 Depth=2
	s_or_b64 exec, exec, s[88:89]
	;;#ASMSTART
	s_wakeup
	;;#ASMEND
.LBB2_96:                               ;   in Loop: Header=BB2_57 Depth=2
	s_or_b64 exec, exec, s[78:79]
.LBB2_97:                               ;   in Loop: Header=BB2_57 Depth=2
	s_andn2_saveexec_b64 s[76:77], s[76:77]
	s_cbranch_execz .LBB2_99
; %bb.98:                               ;   in Loop: Header=BB2_57 Depth=2
	s_waitcnt vmcnt(0) lgkmcnt(0)
	buffer_wbinvl1_vol
	s_barrier
.LBB2_99:                               ;   in Loop: Header=BB2_57 Depth=2
	s_or_b64 exec, exec, s[76:77]
.LBB2_100:                              ;   in Loop: Header=BB2_57 Depth=2
	s_or_b64 exec, exec, s[26:27]
	s_trap 2
	ds_read_b32 v3, v0
	v_and_b32_e32 v4, 0x4000, v47
	v_cmp_ne_u32_e32 vcc, 0, v4
	s_xor_b64 s[26:27], s[6:7], -1
	s_and_b64 s[76:77], s[26:27], vcc
	s_and_saveexec_b64 s[26:27], s[76:77]
	s_cbranch_execz .LBB2_119
; %bb.101:                              ;   in Loop: Header=BB2_57 Depth=2
	s_and_saveexec_b64 s[76:77], s[56:57]
	s_xor_b64 s[76:77], exec, s[76:77]
	s_cbranch_execz .LBB2_116
; %bb.102:                              ;   in Loop: Header=BB2_57 Depth=2
	s_and_saveexec_b64 s[78:79], s[16:17]
	s_cbranch_execz .LBB2_115
; %bb.103:                              ;   in Loop: Header=BB2_57 Depth=2
	s_mov_b64 s[90:91], exec
	v_mbcnt_lo_u32_b32 v4, s90, 0
	v_mbcnt_hi_u32_b32 v4, s91, v4
	v_cmp_eq_u32_e32 vcc, 0, v4
	s_waitcnt vmcnt(0) lgkmcnt(0)
	buffer_wbinvl1_vol
	s_and_saveexec_b64 s[88:89], vcc
	s_cbranch_execz .LBB2_105
; %bb.104:                              ;   in Loop: Header=BB2_57 Depth=2
	s_bcnt1_i32_b64 s90, s[90:91]
	v_mov_b32_e32 v4, s90
	v_mov_b32_e32 v5, v2
	ds_add_u64 v0, v[4:5]
	s_trap 2
.LBB2_105:                              ;   in Loop: Header=BB2_57 Depth=2
	s_or_b64 exec, exec, s[88:89]
	s_trap 2
	ds_read_b64 v[4:5], v0
	s_waitcnt lgkmcnt(0)
	v_add_co_u32_e32 v12, vcc, v12, v57
	v_addc_co_u32_e32 v13, vcc, 0, v13, vcc
	v_cmp_lt_u64_e32 vcc, v[4:5], v[12:13]
	s_and_saveexec_b64 s[88:89], vcc
	s_cbranch_execz .LBB2_114
; %bb.106:                              ;   in Loop: Header=BB2_57 Depth=2
	s_mov_b32 s36, 0
	s_mov_b64 s[90:91], 0
                                        ; implicit-def: $sgpr92_sgpr93
                                        ; implicit-def: $sgpr94_sgpr95
	s_branch .LBB2_108
.LBB2_107:                              ;   in Loop: Header=BB2_108 Depth=3
	s_or_b64 exec, exec, s[34:35]
	s_and_b64 vcc, exec, vcc
	s_or_b64 s[90:91], vcc, s[90:91]
	s_andn2_b64 s[92:93], s[92:93], exec
	s_and_b64 vcc, s[94:95], exec
	s_or_b64 s[92:93], s[92:93], vcc
	s_andn2_b64 exec, exec, s[90:91]
	s_cbranch_execz .LBB2_112
.LBB2_108:                              ;   Parent Loop BB2_47 Depth=1
                                        ;     Parent Loop BB2_57 Depth=2
                                        ; =>    This Inner Loop Header: Depth=3
	s_add_i32 s36, s36, 1
	s_cmpk_lg_i32 s36, 0x2710
	s_cselect_b64 s[30:31], -1, 0
	s_and_b64 vcc, exec, s[30:31]
	s_cbranch_vccz .LBB2_110
; %bb.109:                              ;   in Loop: Header=BB2_108 Depth=3
	s_mov_b64 vcc, -1
	s_or_b64 s[94:95], s[94:95], exec
	s_and_saveexec_b64 s[34:35], s[30:31]
	s_cbranch_execz .LBB2_107
	s_branch .LBB2_111
.LBB2_110:                              ;   in Loop: Header=BB2_108 Depth=3
	s_trap 2
	ds_read_b64 v[4:5], v0
	s_andn2_b64 s[30:31], s[30:31], exec
	s_mov_b32 s36, 0
	s_waitcnt lgkmcnt(0)
	flat_load_dword v4, v[4:5] glc
	s_waitcnt vmcnt(0) lgkmcnt(0)
	buffer_wbinvl1_vol
	v_cmp_eq_u32_e32 vcc, 0, v4
	s_and_b64 vcc, vcc, exec
	s_or_b64 s[30:31], s[30:31], vcc
	s_mov_b64 vcc, -1
	s_or_b64 s[94:95], s[94:95], exec
	s_and_saveexec_b64 s[34:35], s[30:31]
	s_cbranch_execz .LBB2_107
.LBB2_111:                              ;   in Loop: Header=BB2_108 Depth=3
	s_sleep 1
	s_trap 2
	ds_read_b64 v[4:5], v0
	s_waitcnt lgkmcnt(0)
	s_andn2_b64 s[94:95], s[94:95], exec
	v_cmp_ge_u64_e32 vcc, v[4:5], v[12:13]
	s_orn2_b64 vcc, vcc, exec
	s_branch .LBB2_107
.LBB2_112:                              ;   in Loop: Header=BB2_57 Depth=2
	s_or_b64 exec, exec, s[90:91]
	s_and_saveexec_b64 s[90:91], s[92:93]
	s_xor_b64 s[90:91], exec, s[90:91]
	s_cbranch_execz .LBB2_114
; %bb.113:                              ;   in Loop: Header=BB2_57 Depth=2
	ds_write_b32 v0, v62
	s_trap 2
.LBB2_114:                              ;   in Loop: Header=BB2_57 Depth=2
	s_or_b64 exec, exec, s[88:89]
	;;#ASMSTART
	s_wakeup
	;;#ASMEND
.LBB2_115:                              ;   in Loop: Header=BB2_57 Depth=2
	s_or_b64 exec, exec, s[78:79]
.LBB2_116:                              ;   in Loop: Header=BB2_57 Depth=2
	s_andn2_saveexec_b64 s[76:77], s[76:77]
	s_cbranch_execz .LBB2_118
; %bb.117:                              ;   in Loop: Header=BB2_57 Depth=2
	s_waitcnt vmcnt(0) lgkmcnt(0)
	buffer_wbinvl1_vol
	s_barrier
.LBB2_118:                              ;   in Loop: Header=BB2_57 Depth=2
	s_or_b64 exec, exec, s[76:77]
.LBB2_119:                              ;   in Loop: Header=BB2_57 Depth=2
	s_or_b64 exec, exec, s[26:27]
	s_trap 2
	ds_read_b64 v[50:51], v0
	s_waitcnt lgkmcnt(0)
	v_cmp_eq_u64_e32 vcc, 0, v[50:51]
	s_cbranch_vccnz .LBB2_127
; %bb.120:                              ;   in Loop: Header=BB2_57 Depth=2
	s_trap 2
	ds_read_b64 v[52:53], v0
	s_waitcnt lgkmcnt(0)
	v_cmp_eq_u64_e32 vcc, 0, v[52:53]
	s_cbranch_vccnz .LBB2_127
; %bb.121:                              ;   in Loop: Header=BB2_57 Depth=2
	s_mov_b64 s[26:27], -1
	s_and_saveexec_b64 s[76:77], s[18:19]
	s_cbranch_execz .LBB2_123
; %bb.122:                              ;   in Loop: Header=BB2_57 Depth=2
	ds_read_b32 v4, v0 offset:720
	s_waitcnt lgkmcnt(0)
	v_and_b32_e32 v4, 15, v4
	v_cmp_eq_u32_e32 vcc, 0, v4
	s_orn2_b64 s[26:27], vcc, exec
.LBB2_123:                              ;   in Loop: Header=BB2_57 Depth=2
	s_or_b64 exec, exec, s[76:77]
	s_and_saveexec_b64 s[76:77], s[20:21]
	s_cbranch_execz .LBB2_125
; %bb.124:                              ;   in Loop: Header=BB2_57 Depth=2
	ds_read_b32 v4, v0 offset:784
	s_waitcnt lgkmcnt(0)
	v_and_b32_e32 v4, 15, v4
	v_cmp_eq_u32_e32 vcc, 0, v4
	s_and_b64 s[78:79], s[26:27], vcc
	s_andn2_b64 s[26:27], s[26:27], exec
	s_and_b64 s[78:79], s[78:79], exec
	s_or_b64 s[26:27], s[26:27], s[78:79]
.LBB2_125:                              ;   in Loop: Header=BB2_57 Depth=2
	s_or_b64 exec, exec, s[76:77]
	v_cmp_eq_u32_e32 vcc, 0, v3
	s_xor_b64 s[26:27], s[26:27], -1
	v_cndmask_b32_e32 v3, 0, v8, vcc
	v_cndmask_b32_e64 v4, 0, 1, s[26:27]
	s_mov_b64 s[78:79], -1
	v_cmp_ne_u32_e32 vcc, 0, v4
	v_mov_b32_e32 v9, 0
	v_mov_b32_e32 v16, v3
	;; [unrolled: 1-line block ×3, first 2 shown]
	s_cbranch_vccz .LBB2_128
; %bb.126:                              ;   in Loop: Header=BB2_57 Depth=2
	s_and_saveexec_b64 s[26:27], s[78:79]
	s_cbranch_execnz .LBB2_139
	s_branch .LBB2_147
.LBB2_127:                              ;   in Loop: Header=BB2_57 Depth=2
	s_mov_b64 s[26:27], 0
	s_and_saveexec_b64 s[76:77], s[10:11]
	s_cbranch_execnz .LBB2_148
	s_branch .LBB2_166
.LBB2_128:                              ;   in Loop: Header=BB2_57 Depth=2
	v_ashrrev_i32_e32 v4, 31, v3
	v_lshrrev_b32_e32 v4, 21, v4
	v_add_u32_e32 v4, v3, v4
	v_ashrrev_i32_e32 v9, 11, v4
	buffer_load_dword v4, off, s[0:3], s33 offset:92 ; 4-byte Folded Reload
	s_waitcnt vmcnt(0)
	v_sub_u32_e32 v30, v9, v4
	v_cmp_lt_i32_e32 vcc, 0, v30
	s_and_saveexec_b64 s[26:27], vcc
	s_cbranch_execz .LBB2_132
; %bb.129:                              ;   in Loop: Header=BB2_57 Depth=2
	buffer_load_dword v54, off, s[0:3], s33 offset:120 ; 4-byte Folded Reload
	buffer_load_dword v55, off, s[0:3], s33 offset:124 ; 4-byte Folded Reload
	s_mov_b64 s[76:77], 0
.LBB2_130:                              ;   Parent Loop BB2_47 Depth=1
                                        ;     Parent Loop BB2_57 Depth=2
                                        ; =>    This Inner Loop Header: Depth=3
	s_waitcnt vmcnt(1)
	v_add_co_u32_e32 v4, vcc, v50, v54
	s_waitcnt vmcnt(0)
	v_addc_co_u32_e32 v5, vcc, v51, v55, vcc
	global_load_dwordx4 v[41:44], v[4:5], off glc slc
	global_load_dwordx4 v[16:19], v[4:5], off offset:1024 glc slc
	v_add_co_u32_e32 v4, vcc, v52, v54
	v_addc_co_u32_e32 v5, vcc, v53, v55, vcc
	v_add_co_u32_e32 v54, vcc, v54, v49
	v_sub_u32_e32 v30, v30, v57
	v_addc_co_u32_e32 v55, vcc, 0, v55, vcc
	v_cmp_gt_i32_e32 vcc, 1, v30
	s_or_b64 s[76:77], vcc, s[76:77]
	s_waitcnt vmcnt(1)
	global_store_dwordx4 v[4:5], v[41:44], off glc slc
	s_waitcnt vmcnt(1)
	global_store_dwordx4 v[4:5], v[16:19], off offset:1024 glc slc
	s_andn2_b64 exec, exec, s[76:77]
	s_cbranch_execnz .LBB2_130
; %bb.131:                              ;   in Loop: Header=BB2_57 Depth=2
	s_or_b64 exec, exec, s[76:77]
	v_mov_b32_e32 v43, 0xc8
	v_mov_b32_e32 v19, 0x90
	;; [unrolled: 1-line block ×3, first 2 shown]
.LBB2_132:                              ;   in Loop: Header=BB2_57 Depth=2
	s_or_b64 exec, exec, s[26:27]
	v_lshlrev_b32_e32 v18, 11, v9
	v_cmp_ne_u32_e32 vcc, v3, v18
	s_mov_b64 s[78:79], 0
	v_mov_b32_e32 v9, 0
                                        ; implicit-def: $vgpr16
                                        ; implicit-def: $vgpr17
	s_and_saveexec_b64 s[76:77], vcc
	s_cbranch_execz .LBB2_138
; %bb.133:                              ;   in Loop: Header=BB2_57 Depth=2
	v_lshlrev_b32_e32 v5, 6, v30
	v_sub_u32_e32 v5, v58, v5
	v_ashrrev_i32_e32 v6, 31, v5
	v_lshrrev_b32_e32 v6, 26, v6
	v_add_u32_e32 v6, v5, v6
	v_ashrrev_i32_e32 v7, 6, v6
	v_and_b32_e32 v6, 0xffffffc0, v6
	v_sub_u32_e32 v17, v5, v6
	v_sub_u32_e32 v4, v3, v18
	v_lshlrev_b32_e32 v5, 4, v17
	v_lshl_add_u32 v48, v7, 10, v5
	v_ashrrev_i32_e32 v5, 31, v4
	v_lshrrev_b32_e32 v5, 22, v5
	v_add_u32_e32 v5, v4, v5
	v_and_b32_e32 v9, 0xfffffc00, v5
	v_sub_u32_e32 v16, v4, v9
	v_ashrrev_i32_e32 v6, 10, v5
	v_cmp_lt_i32_e32 vcc, 15, v16
	v_sub_u32_e32 v31, v4, v48
	v_addc_co_u32_e64 v4, s[26:27], 0, v6, vcc
	v_sub_u32_e32 v30, v4, v7
	v_cmp_lt_i32_e64 s[26:27], 15, v31
	s_and_saveexec_b64 s[78:79], s[26:27]
	s_cbranch_execz .LBB2_137
; %bb.134:                              ;   in Loop: Header=BB2_57 Depth=2
	v_add_u32_e32 v48, v48, v18
	v_ashrrev_i32_e32 v49, 31, v48
	s_mov_b64 s[88:89], 0
.LBB2_135:                              ;   Parent Loop BB2_47 Depth=1
                                        ;     Parent Loop BB2_57 Depth=2
                                        ; =>    This Inner Loop Header: Depth=3
	v_add_co_u32_e64 v4, s[26:27], v50, v48
	v_addc_co_u32_e64 v5, s[26:27], v51, v49, s[26:27]
	global_load_dwordx4 v[41:44], v[4:5], off glc slc
	v_add_co_u32_e64 v4, s[26:27], v52, v48
	v_addc_co_u32_e64 v5, s[26:27], v53, v49, s[26:27]
	v_add_co_u32_e64 v48, s[26:27], v48, v14
	v_sub_u32_e32 v31, v31, v14
	v_addc_co_u32_e64 v49, s[26:27], 0, v49, s[26:27]
	v_cmp_gt_i32_e64 s[26:27], 16, v31
	v_sub_u32_e32 v30, v30, v57
	s_or_b64 s[88:89], s[26:27], s[88:89]
	s_waitcnt vmcnt(0)
	global_store_dwordx4 v[4:5], v[41:44], off glc slc
	s_andn2_b64 exec, exec, s[88:89]
	s_cbranch_execnz .LBB2_135
; %bb.136:                              ;   in Loop: Header=BB2_57 Depth=2
	s_or_b64 exec, exec, s[88:89]
	v_mov_b32_e32 v43, 0xc8
	v_mov_b32_e32 v42, 0xd0
	v_lshlrev_b32_e32 v49, 11, v57
.LBB2_137:                              ;   in Loop: Header=BB2_57 Depth=2
	s_or_b64 exec, exec, s[78:79]
	v_and_b32_e32 v4, 15, v3
	v_sub_u32_e32 v5, v16, v4
	v_cndmask_b32_e32 v5, 0, v5, vcc
	v_cndmask_b32_e32 v16, v16, v4, vcc
	v_cmp_lt_i32_e32 vcc, 0, v30
	v_cndmask_b32_e32 v4, 0, v57, vcc
	v_sub_u32_e32 v4, v4, v30
	v_cmp_ne_u32_e32 vcc, 0, v16
	v_add3_u32 v9, v9, v18, v5
	v_lshl_add_u32 v17, v4, 6, v17
	s_and_b64 s[78:79], vcc, exec
.LBB2_138:                              ;   in Loop: Header=BB2_57 Depth=2
	s_or_b64 exec, exec, s[76:77]
	s_and_saveexec_b64 s[26:27], s[78:79]
	s_cbranch_execz .LBB2_147
.LBB2_139:                              ;   in Loop: Header=BB2_57 Depth=2
	v_ashrrev_i32_e32 v4, 31, v17
	v_lshrrev_b32_e32 v4, 26, v4
	v_add_u32_e32 v48, v17, v4
	v_ashrrev_i32_e32 v4, 31, v16
	v_lshrrev_b32_e32 v4, 23, v4
	v_add_u32_e32 v4, v16, v4
	v_ashrrev_i32_e32 v18, 6, v48
	v_ashrrev_i32_e32 v31, 9, v4
	v_sub_u32_e32 v30, v31, v18
	v_cmp_lt_i32_e32 vcc, 0, v30
	s_and_saveexec_b64 s[76:77], vcc
	s_cbranch_execz .LBB2_143
; %bb.140:                              ;   in Loop: Header=BB2_57 Depth=2
	v_and_b32_e32 v4, 0xffffffc0, v48
	v_sub_u32_e32 v4, v17, v4
	v_lshlrev_b32_e32 v5, 9, v18
	v_add3_u32 v48, v9, v4, v5
	v_ashrrev_i32_e32 v49, 31, v48
	s_mov_b64 s[78:79], 0
.LBB2_141:                              ;   Parent Loop BB2_47 Depth=1
                                        ;     Parent Loop BB2_57 Depth=2
                                        ; =>    This Inner Loop Header: Depth=3
	v_add_co_u32_e32 v4, vcc, v48, v50
	v_addc_co_u32_e32 v5, vcc, v49, v51, vcc
	flat_load_ubyte v6, v[4:5] glc slc
	flat_load_ubyte v7, v[4:5] offset:64 glc slc
	flat_load_ubyte v19, v[4:5] offset:128 glc slc
	s_waitcnt vmcnt(0)
	flat_load_ubyte v34, v[4:5] offset:192 glc slc
	flat_load_ubyte v35, v[4:5] offset:256 glc slc
	;; [unrolled: 1-line block ×5, first 2 shown]
	v_add_co_u32_e32 v4, vcc, v48, v52
	v_addc_co_u32_e32 v5, vcc, v49, v53, vcc
	v_add_co_u32_e32 v50, vcc, v50, v15
	v_addc_co_u32_e32 v51, vcc, 0, v51, vcc
	v_add_co_u32_e32 v52, vcc, v52, v15
	v_sub_u32_e32 v30, v30, v57
	v_addc_co_u32_e32 v53, vcc, 0, v53, vcc
	v_cmp_gt_i32_e32 vcc, 1, v30
	s_or_b64 s[78:79], vcc, s[78:79]
	s_waitcnt vmcnt(0) lgkmcnt(0)
	flat_store_byte v[4:5], v6 glc slc
	flat_store_byte v[4:5], v7 offset:64 glc slc
	flat_store_byte v[4:5], v19 offset:128 glc slc
	;; [unrolled: 1-line block ×7, first 2 shown]
	s_andn2_b64 exec, exec, s[78:79]
	s_cbranch_execnz .LBB2_141
; %bb.142:                              ;   in Loop: Header=BB2_57 Depth=2
	s_or_b64 exec, exec, s[78:79]
	buffer_load_dword v34, off, s[0:3], s33 offset:76 ; 4-byte Folded Reload
	buffer_load_dword v35, off, s[0:3], s33 offset:80 ; 4-byte Folded Reload
	;; [unrolled: 1-line block ×4, first 2 shown]
	v_mov_b32_e32 v19, 0x90
	v_lshlrev_b32_e32 v49, 11, v57
.LBB2_143:                              ;   in Loop: Header=BB2_57 Depth=2
	s_or_b64 exec, exec, s[76:77]
	v_lshlrev_b32_e32 v31, 9, v31
	v_cmp_ne_u32_e32 vcc, v16, v31
	s_and_b64 exec, exec, vcc
	s_cbranch_execz .LBB2_147
; %bb.144:                              ;   in Loop: Header=BB2_57 Depth=2
	v_lshlrev_b32_e32 v4, 6, v18
	v_sub_u32_e32 v4, v17, v4
	v_lshlrev_b32_e32 v5, 6, v30
	v_sub_u32_e32 v4, v4, v5
	v_add_u32_e32 v17, v31, v4
	v_sub_u32_e32 v16, v16, v17
	v_cmp_lt_i32_e32 vcc, 0, v16
	s_and_b64 exec, exec, vcc
	s_cbranch_execz .LBB2_147
; %bb.145:                              ;   in Loop: Header=BB2_57 Depth=2
	s_trap 2
	ds_read_b64 v[50:51], v0
	v_add_u32_e32 v9, v17, v9
	v_ashrrev_i32_e32 v17, 31, v9
	s_mov_b64 s[76:77], 0
.LBB2_146:                              ;   Parent Loop BB2_47 Depth=1
                                        ;     Parent Loop BB2_57 Depth=2
                                        ; =>    This Inner Loop Header: Depth=3
	s_waitcnt lgkmcnt(0)
	v_add_co_u32_e32 v4, vcc, v50, v9
	v_addc_co_u32_e32 v5, vcc, v51, v17, vcc
	flat_load_ubyte v6, v[4:5] glc slc
	v_add_co_u32_e32 v9, vcc, v9, v60
	v_sub_u32_e32 v16, v16, v60
	v_addc_co_u32_e32 v17, vcc, 0, v17, vcc
	v_cmp_gt_i32_e32 vcc, 1, v16
	s_or_b64 s[76:77], vcc, s[76:77]
	s_waitcnt vmcnt(0) lgkmcnt(0)
	flat_store_byte v[4:5], v6 glc slc
	s_andn2_b64 exec, exec, s[76:77]
	s_cbranch_execnz .LBB2_146
.LBB2_147:                              ;   in Loop: Header=BB2_57 Depth=2
	s_or_b64 exec, exec, s[26:27]
	v_cmp_lt_i32_e64 s[26:27], 0, v3
	s_and_saveexec_b64 s[76:77], s[10:11]
	s_cbranch_execz .LBB2_166
.LBB2_148:                              ;   in Loop: Header=BB2_57 Depth=2
	s_and_saveexec_b64 s[78:79], s[56:57]
	s_xor_b64 s[78:79], exec, s[78:79]
	s_cbranch_execz .LBB2_163
; %bb.149:                              ;   in Loop: Header=BB2_57 Depth=2
	s_and_saveexec_b64 s[88:89], s[16:17]
	s_cbranch_execz .LBB2_162
; %bb.150:                              ;   in Loop: Header=BB2_57 Depth=2
	s_mov_b64 s[92:93], exec
	v_mbcnt_lo_u32_b32 v3, s92, 0
	v_mbcnt_hi_u32_b32 v3, s93, v3
	v_cmp_eq_u32_e32 vcc, 0, v3
	s_waitcnt vmcnt(0) lgkmcnt(0)
	buffer_wbinvl1_vol
	s_and_saveexec_b64 s[90:91], vcc
	s_cbranch_execz .LBB2_152
; %bb.151:                              ;   in Loop: Header=BB2_57 Depth=2
	s_bcnt1_i32_b64 s92, s[92:93]
	v_mov_b32_e32 v3, s92
	v_mov_b32_e32 v4, v2
	ds_add_u64 v0, v[3:4]
	s_trap 2
.LBB2_152:                              ;   in Loop: Header=BB2_57 Depth=2
	s_or_b64 exec, exec, s[90:91]
	s_trap 2
	ds_read_b64 v[3:4], v0
	s_waitcnt lgkmcnt(0)
	v_add_co_u32_e32 v12, vcc, v12, v57
	v_addc_co_u32_e32 v13, vcc, 0, v13, vcc
	v_cmp_lt_u64_e32 vcc, v[3:4], v[12:13]
	s_and_saveexec_b64 s[90:91], vcc
	s_cbranch_execz .LBB2_161
; %bb.153:                              ;   in Loop: Header=BB2_57 Depth=2
	s_mov_b32 s38, 0
	s_mov_b64 s[92:93], 0
                                        ; implicit-def: $sgpr94_sgpr95
                                        ; implicit-def: $sgpr30_sgpr31
	s_branch .LBB2_155
.LBB2_154:                              ;   in Loop: Header=BB2_155 Depth=3
	s_or_b64 exec, exec, s[36:37]
	s_and_b64 vcc, exec, vcc
	s_or_b64 s[92:93], vcc, s[92:93]
	s_andn2_b64 s[94:95], s[94:95], exec
	s_and_b64 vcc, s[30:31], exec
	s_or_b64 s[94:95], s[94:95], vcc
	s_andn2_b64 exec, exec, s[92:93]
	s_cbranch_execz .LBB2_159
.LBB2_155:                              ;   Parent Loop BB2_47 Depth=1
                                        ;     Parent Loop BB2_57 Depth=2
                                        ; =>    This Inner Loop Header: Depth=3
	s_add_i32 s38, s38, 1
	s_cmpk_lg_i32 s38, 0x2710
	s_cselect_b64 s[34:35], -1, 0
	s_and_b64 vcc, exec, s[34:35]
	s_cbranch_vccz .LBB2_157
; %bb.156:                              ;   in Loop: Header=BB2_155 Depth=3
	s_mov_b64 vcc, -1
	s_or_b64 s[30:31], s[30:31], exec
	s_and_saveexec_b64 s[36:37], s[34:35]
	s_cbranch_execz .LBB2_154
	s_branch .LBB2_158
.LBB2_157:                              ;   in Loop: Header=BB2_155 Depth=3
	s_trap 2
	ds_read_b64 v[3:4], v0
	s_andn2_b64 s[34:35], s[34:35], exec
	s_mov_b32 s38, 0
	s_waitcnt lgkmcnt(0)
	flat_load_dword v3, v[3:4] glc
	s_waitcnt vmcnt(0) lgkmcnt(0)
	buffer_wbinvl1_vol
	v_cmp_eq_u32_e32 vcc, 0, v3
	s_and_b64 vcc, vcc, exec
	s_or_b64 s[34:35], s[34:35], vcc
	s_mov_b64 vcc, -1
	s_or_b64 s[30:31], s[30:31], exec
	s_and_saveexec_b64 s[36:37], s[34:35]
	s_cbranch_execz .LBB2_154
.LBB2_158:                              ;   in Loop: Header=BB2_155 Depth=3
	s_sleep 1
	s_trap 2
	ds_read_b64 v[3:4], v0
	s_waitcnt lgkmcnt(0)
	s_andn2_b64 s[30:31], s[30:31], exec
	v_cmp_ge_u64_e32 vcc, v[3:4], v[12:13]
	s_orn2_b64 vcc, vcc, exec
	s_branch .LBB2_154
.LBB2_159:                              ;   in Loop: Header=BB2_57 Depth=2
	s_or_b64 exec, exec, s[92:93]
	s_and_saveexec_b64 s[92:93], s[94:95]
	s_xor_b64 s[92:93], exec, s[92:93]
	s_cbranch_execz .LBB2_161
; %bb.160:                              ;   in Loop: Header=BB2_57 Depth=2
	ds_write_b32 v0, v62
	s_trap 2
.LBB2_161:                              ;   in Loop: Header=BB2_57 Depth=2
	s_or_b64 exec, exec, s[90:91]
	;;#ASMSTART
	s_wakeup
	;;#ASMEND
.LBB2_162:                              ;   in Loop: Header=BB2_57 Depth=2
	s_or_b64 exec, exec, s[88:89]
.LBB2_163:                              ;   in Loop: Header=BB2_57 Depth=2
	s_andn2_saveexec_b64 s[78:79], s[78:79]
	s_cbranch_execz .LBB2_165
; %bb.164:                              ;   in Loop: Header=BB2_57 Depth=2
	s_waitcnt vmcnt(0) lgkmcnt(0)
	buffer_wbinvl1_vol
	s_barrier
.LBB2_165:                              ;   in Loop: Header=BB2_57 Depth=2
	s_or_b64 exec, exec, s[78:79]
.LBB2_166:                              ;   in Loop: Header=BB2_57 Depth=2
	s_or_b64 exec, exec, s[76:77]
	v_and_b32_e32 v3, 16, v47
	s_and_saveexec_b64 s[76:77], s[24:25]
	s_xor_b64 s[76:77], exec, s[76:77]
	s_cbranch_execz .LBB2_171
; %bb.167:                              ;   in Loop: Header=BB2_57 Depth=2
	v_and_b32_e32 v4, 16, v47
	v_cmp_ne_u32_e32 vcc, 0, v4
	v_and_b32_e32 v3, 16, v47
	s_and_b64 s[78:79], vcc, s[26:27]
	s_and_saveexec_b64 s[26:27], s[78:79]
	s_cbranch_execz .LBB2_169
; %bb.168:                              ;   in Loop: Header=BB2_57 Depth=2
	v_mov_b32_e32 v3, 1
	s_waitcnt vmcnt(0) lgkmcnt(0)
	buffer_wbinvl1_vol
.LBB2_169:                              ;   in Loop: Header=BB2_57 Depth=2
	s_or_b64 exec, exec, s[26:27]
	s_andn2_saveexec_b64 s[26:27], s[76:77]
	s_cbranch_execnz .LBB2_172
.LBB2_170:                              ;   in Loop: Header=BB2_57 Depth=2
	s_or_b64 exec, exec, s[26:27]
	v_cmp_ne_u32_e32 vcc, 0, v3
	s_and_saveexec_b64 s[26:27], vcc
	s_cbranch_execz .LBB2_56
	s_branch .LBB2_190
.LBB2_171:                              ;   in Loop: Header=BB2_57 Depth=2
	s_andn2_saveexec_b64 s[26:27], s[76:77]
	s_cbranch_execz .LBB2_170
.LBB2_172:                              ;   in Loop: Header=BB2_57 Depth=2
	s_and_saveexec_b64 s[76:77], s[56:57]
	s_xor_b64 s[76:77], exec, s[76:77]
	s_cbranch_execz .LBB2_187
; %bb.173:                              ;   in Loop: Header=BB2_57 Depth=2
	s_and_saveexec_b64 s[78:79], s[16:17]
	s_cbranch_execz .LBB2_186
; %bb.174:                              ;   in Loop: Header=BB2_57 Depth=2
	s_mov_b64 s[90:91], exec
	v_mbcnt_lo_u32_b32 v4, s90, 0
	v_mbcnt_hi_u32_b32 v4, s91, v4
	v_cmp_eq_u32_e32 vcc, 0, v4
	;;#ASMSTART
	s_waitcnt lgkmcnt(0) vmcnt(0)
	;;#ASMEND
	s_and_saveexec_b64 s[88:89], vcc
	s_cbranch_execz .LBB2_176
; %bb.175:                              ;   in Loop: Header=BB2_57 Depth=2
	s_bcnt1_i32_b64 s90, s[90:91]
	v_mov_b32_e32 v4, s90
	v_mov_b32_e32 v5, v2
	s_waitcnt lgkmcnt(0)
	ds_add_u64 v0, v[4:5]
	s_trap 2
.LBB2_176:                              ;   in Loop: Header=BB2_57 Depth=2
	s_or_b64 exec, exec, s[88:89]
	s_trap 2
	ds_read_b64 v[4:5], v0
	s_waitcnt lgkmcnt(0)
	v_add_co_u32_e32 v12, vcc, v12, v57
	v_addc_co_u32_e32 v13, vcc, 0, v13, vcc
	v_cmp_lt_u64_e32 vcc, v[4:5], v[12:13]
	s_and_saveexec_b64 s[88:89], vcc
	s_cbranch_execz .LBB2_185
; %bb.177:                              ;   in Loop: Header=BB2_57 Depth=2
	s_mov_b32 s36, 0
	s_mov_b64 s[90:91], 0
                                        ; implicit-def: $sgpr92_sgpr93
                                        ; implicit-def: $sgpr94_sgpr95
	s_branch .LBB2_179
.LBB2_178:                              ;   in Loop: Header=BB2_179 Depth=3
	s_or_b64 exec, exec, s[34:35]
	s_and_b64 vcc, exec, vcc
	s_or_b64 s[90:91], vcc, s[90:91]
	s_andn2_b64 s[92:93], s[92:93], exec
	s_and_b64 vcc, s[94:95], exec
	s_or_b64 s[92:93], s[92:93], vcc
	s_andn2_b64 exec, exec, s[90:91]
	s_cbranch_execz .LBB2_183
.LBB2_179:                              ;   Parent Loop BB2_47 Depth=1
                                        ;     Parent Loop BB2_57 Depth=2
                                        ; =>    This Inner Loop Header: Depth=3
	s_add_i32 s36, s36, 1
	s_cmpk_lg_i32 s36, 0x2710
	s_cselect_b64 s[30:31], -1, 0
	s_and_b64 vcc, exec, s[30:31]
	s_cbranch_vccz .LBB2_181
; %bb.180:                              ;   in Loop: Header=BB2_179 Depth=3
	s_mov_b64 vcc, -1
	s_or_b64 s[94:95], s[94:95], exec
	s_and_saveexec_b64 s[34:35], s[30:31]
	s_cbranch_execz .LBB2_178
	s_branch .LBB2_182
.LBB2_181:                              ;   in Loop: Header=BB2_179 Depth=3
	s_trap 2
	ds_read_b64 v[4:5], v0
	s_andn2_b64 s[30:31], s[30:31], exec
	s_mov_b32 s36, 0
	s_waitcnt vmcnt(0) lgkmcnt(0)
	flat_load_dword v4, v[4:5] glc
	s_waitcnt vmcnt(0) lgkmcnt(0)
	buffer_wbinvl1_vol
	v_cmp_eq_u32_e32 vcc, 0, v4
	s_and_b64 vcc, vcc, exec
	s_or_b64 s[30:31], s[30:31], vcc
	s_mov_b64 vcc, -1
	s_or_b64 s[94:95], s[94:95], exec
	s_and_saveexec_b64 s[34:35], s[30:31]
	s_cbranch_execz .LBB2_178
.LBB2_182:                              ;   in Loop: Header=BB2_179 Depth=3
	s_sleep 1
	s_trap 2
	ds_read_b64 v[4:5], v0
	s_waitcnt lgkmcnt(0)
	s_andn2_b64 s[94:95], s[94:95], exec
	v_cmp_ge_u64_e32 vcc, v[4:5], v[12:13]
	s_orn2_b64 vcc, vcc, exec
	s_branch .LBB2_178
.LBB2_183:                              ;   in Loop: Header=BB2_57 Depth=2
	s_or_b64 exec, exec, s[90:91]
	s_and_saveexec_b64 s[90:91], s[92:93]
	s_xor_b64 s[90:91], exec, s[90:91]
	s_cbranch_execz .LBB2_185
; %bb.184:                              ;   in Loop: Header=BB2_57 Depth=2
	ds_write_b32 v0, v62
	s_trap 2
.LBB2_185:                              ;   in Loop: Header=BB2_57 Depth=2
	s_or_b64 exec, exec, s[88:89]
	;;#ASMSTART
	s_wakeup
	;;#ASMEND
.LBB2_186:                              ;   in Loop: Header=BB2_57 Depth=2
	s_or_b64 exec, exec, s[78:79]
.LBB2_187:                              ;   in Loop: Header=BB2_57 Depth=2
	s_andn2_saveexec_b64 s[76:77], s[76:77]
	s_cbranch_execz .LBB2_189
; %bb.188:                              ;   in Loop: Header=BB2_57 Depth=2
	;;#ASMSTART
	s_waitcnt lgkmcnt(0) vmcnt(0)
	;;#ASMEND
	s_waitcnt vmcnt(0) lgkmcnt(0)
	s_barrier
.LBB2_189:                              ;   in Loop: Header=BB2_57 Depth=2
	s_or_b64 exec, exec, s[76:77]
	s_or_b64 exec, exec, s[26:27]
	v_cmp_ne_u32_e32 vcc, 0, v3
	s_and_saveexec_b64 s[26:27], vcc
	s_cbranch_execz .LBB2_56
.LBB2_190:                              ;   in Loop: Header=BB2_57 Depth=2
	s_and_saveexec_b64 s[76:77], s[14:15]
	s_cbranch_execz .LBB2_55
; %bb.191:                              ;   in Loop: Header=BB2_57 Depth=2
	flat_store_dword v[24:25], v62
	s_branch .LBB2_55
.LBB2_192:                              ;   in Loop: Header=BB2_47 Depth=1
	s_or_b64 exec, exec, s[40:41]
.LBB2_193:                              ;   in Loop: Header=BB2_47 Depth=1
	s_or_b64 exec, exec, s[28:29]
	v_cmp_gt_i32_e32 vcc, 2, v3
	s_and_saveexec_b64 s[28:29], vcc
	s_cbranch_execz .LBB2_265
; %bb.194:                              ;   in Loop: Header=BB2_47 Depth=1
	v_cmp_eq_u32_e64 s[42:43], 0, v3
	s_mov_b64 s[40:41], 0
	s_branch .LBB2_197
.LBB2_195:                              ;   in Loop: Header=BB2_197 Depth=2
	s_or_b64 exec, exec, s[42:43]
	v_add_co_u32_e32 v38, vcc, 2, v38
	v_addc_co_u32_e32 v39, vcc, 0, v39, vcc
	flat_store_dwordx2 v[20:21], v[38:39]
.LBB2_196:                              ;   in Loop: Header=BB2_197 Depth=2
	s_or_b64 exec, exec, s[26:27]
	v_add_u32_e32 v40, v8, v40
	s_mov_b64 s[42:43], 0
	s_andn2_b64 exec, exec, s[40:41]
	s_cbranch_execz .LBB2_264
.LBB2_197:                              ;   Parent Loop BB2_47 Depth=1
                                        ; =>  This Loop Header: Depth=2
                                        ;       Child Loop BB2_203 Depth 3
                                        ;       Child Loop BB2_227 Depth 3
	;; [unrolled: 1-line block ×3, first 2 shown]
	v_sub_u32_e32 v3, v1, v40
	v_min_i32_e32 v8, v8, v3
	v_and_b32_e32 v3, 8, v47
	v_cmp_ne_u32_e32 vcc, 0, v3
	s_and_saveexec_b64 s[76:77], vcc
	s_cbranch_execz .LBB2_219
; %bb.198:                              ;   in Loop: Header=BB2_197 Depth=2
	s_waitcnt vmcnt(0) lgkmcnt(0)
	v_add_co_u32_e32 v3, vcc, 8, v26
	v_addc_co_u32_e32 v4, vcc, 0, v27, vcc
	v_add_co_u32_e32 v10, vcc, 2, v38
	v_addc_co_u32_e32 v11, vcc, 0, v39, vcc
	v_cmp_lt_u64_e32 vcc, v[3:4], v[10:11]
	s_and_saveexec_b64 s[78:79], vcc
	s_cbranch_execz .LBB2_210
; %bb.199:                              ;   in Loop: Header=BB2_197 Depth=2
	v_and_b32_e32 v3, 64, v47
	s_mov_b32 s75, 0
	v_cmp_eq_u32_e32 vcc, 0, v3
	s_mov_b64 s[88:89], 0
                                        ; implicit-def: $sgpr90_sgpr91
                                        ; implicit-def: $sgpr92_sgpr93
                                        ; implicit-def: $sgpr94_sgpr95
	s_branch .LBB2_203
.LBB2_200:                              ;   in Loop: Header=BB2_203 Depth=3
	s_waitcnt vmcnt(0) lgkmcnt(0)
	v_add_co_u32_e64 v4, s[26:27], 8, v26
	v_addc_co_u32_e64 v5, s[26:27], 0, v27, s[26:27]
	v_cmp_ge_u64_e64 s[26:27], v[4:5], v[10:11]
	s_or_b64 s[36:37], s[36:37], exec
	s_orn2_b64 s[34:35], s[26:27], exec
.LBB2_201:                              ;   in Loop: Header=BB2_203 Depth=3
	s_or_b64 exec, exec, s[48:49]
	s_andn2_b64 s[26:27], s[94:95], exec
	s_and_b64 s[94:95], s[36:37], exec
	s_or_b64 s[94:95], s[26:27], s[94:95]
	s_andn2_b64 s[26:27], s[92:93], exec
	s_and_b64 s[92:93], s[34:35], exec
	s_or_b64 s[92:93], s[26:27], s[92:93]
.LBB2_202:                              ;   in Loop: Header=BB2_203 Depth=3
	s_or_b64 exec, exec, s[30:31]
	s_and_b64 s[26:27], exec, s[92:93]
	s_or_b64 s[88:89], s[26:27], s[88:89]
	s_andn2_b64 s[26:27], s[90:91], exec
	s_and_b64 s[90:91], s[94:95], exec
	s_or_b64 s[90:91], s[26:27], s[90:91]
	s_andn2_b64 exec, exec, s[88:89]
	s_cbranch_execz .LBB2_207
.LBB2_203:                              ;   Parent Loop BB2_47 Depth=1
                                        ;     Parent Loop BB2_197 Depth=2
                                        ; =>    This Inner Loop Header: Depth=3
	s_sleep 1
	s_waitcnt vmcnt(0) lgkmcnt(0)
	flat_load_dwordx2 v[26:27], v[20:21] glc
	s_or_b64 s[94:95], s[94:95], exec
	s_or_b64 s[92:93], s[92:93], exec
                                        ; implicit-def: $vgpr3
	s_and_saveexec_b64 s[30:31], vcc
	s_cbranch_execz .LBB2_202
; %bb.204:                              ;   in Loop: Header=BB2_203 Depth=3
	s_cmpk_lt_i32 s75, 0x270f
	s_cselect_b64 s[38:39], -1, 0
	s_cmpk_gt_i32 s75, 0x270e
	s_mov_b64 s[34:35], -1
	s_cbranch_scc0 .LBB2_206
; %bb.205:                              ;   in Loop: Header=BB2_203 Depth=3
	s_trap 2
	ds_read_b64 v[3:4], v0
	s_andn2_b64 s[38:39], s[38:39], exec
	s_mov_b32 s75, 0
	s_mov_b64 s[36:37], 0
	s_waitcnt vmcnt(0) lgkmcnt(0)
	flat_load_dword v3, v[3:4] glc
	s_waitcnt vmcnt(0) lgkmcnt(0)
	buffer_wbinvl1_vol
	v_cmp_eq_u32_e64 s[26:27], 0, v3
	s_and_b64 s[26:27], s[26:27], exec
	s_or_b64 s[38:39], s[38:39], s[26:27]
	s_and_saveexec_b64 s[48:49], s[38:39]
	s_cbranch_execz .LBB2_201
	s_branch .LBB2_200
.LBB2_206:                              ;   in Loop: Header=BB2_203 Depth=3
	s_add_i32 s75, s75, 1
	s_mov_b64 s[36:37], -1
                                        ; implicit-def: $vgpr3
	s_and_saveexec_b64 s[48:49], s[38:39]
	s_cbranch_execz .LBB2_201
	s_branch .LBB2_200
.LBB2_207:                              ;   in Loop: Header=BB2_197 Depth=2
	s_or_b64 exec, exec, s[88:89]
	s_xor_b64 s[26:27], s[90:91], -1
	s_and_saveexec_b64 s[88:89], s[26:27]
	s_xor_b64 s[26:27], exec, s[88:89]
	s_cbranch_execz .LBB2_209
; %bb.208:                              ;   in Loop: Header=BB2_197 Depth=2
	v_or_b32_e32 v47, 64, v47
	s_waitcnt lgkmcnt(0)
	ds_write_b32 v0, v3
	s_trap 2
.LBB2_209:                              ;   in Loop: Header=BB2_197 Depth=2
	s_or_b64 exec, exec, s[26:27]
.LBB2_210:                              ;   in Loop: Header=BB2_197 Depth=2
	s_or_b64 exec, exec, s[78:79]
	v_and_b32_e32 v3, 0x100, v47
	v_cmp_ne_u32_e32 vcc, 0, v3
	v_and_b32_e32 v3, 7, v38
	s_mov_b64 s[26:27], -1
	;;#ASMSTART
	s_wakeup
	;;#ASMEND
                                        ; implicit-def: $vgpr38_vgpr39
	s_and_saveexec_b64 s[78:79], vcc
	s_cbranch_execz .LBB2_214
; %bb.211:                              ;   in Loop: Header=BB2_197 Depth=2
	v_mad_u64_u32 v[50:51], s[26:27], v3, 24, v[34:35]
	v_ashrrev_i32_e32 v9, 31, v8
                                        ; implicit-def: $vgpr38_vgpr39
	flat_load_dword v4, v[50:51]
	s_nop 0
	flat_store_dwordx2 v[50:51], v[8:9] offset:8
	s_waitcnt vmcnt(0) lgkmcnt(0)
	v_cmp_ne_u32_e32 vcc, 1, v4
	v_cmp_eq_u32_e64 s[26:27], 1, v4
	s_and_saveexec_b64 s[88:89], s[26:27]
	s_cbranch_execz .LBB2_213
; %bb.212:                              ;   in Loop: Header=BB2_197 Depth=2
	flat_load_dword v38, v[50:51] offset:4 glc
	s_waitcnt vmcnt(0) lgkmcnt(0)
	v_ashrrev_i32_e32 v39, 31, v38
.LBB2_213:                              ;   in Loop: Header=BB2_197 Depth=2
	s_or_b64 exec, exec, s[88:89]
	s_orn2_b64 s[26:27], vcc, exec
.LBB2_214:                              ;   in Loop: Header=BB2_197 Depth=2
	s_or_b64 exec, exec, s[78:79]
	s_and_saveexec_b64 s[78:79], s[26:27]
; %bb.215:                              ;   in Loop: Header=BB2_197 Depth=2
	v_mad_i64_i32 v[38:39], s[26:27], v3, v56, 0
; %bb.216:                              ;   in Loop: Header=BB2_197 Depth=2
	s_or_b64 exec, exec, s[78:79]
	v_add_co_u32_e32 v3, vcc, v22, v38
	v_addc_co_u32_e32 v4, vcc, v23, v39, vcc
	ds_write_b64 v0, v[3:4] offset:784
	v_and_b32_e32 v3, 0x2000, v47
	v_cmp_ne_u32_e32 vcc, 0, v3
	s_and_saveexec_b64 s[26:27], vcc
	s_cbranch_execz .LBB2_218
; %bb.217:                              ;   in Loop: Header=BB2_197 Depth=2
	ds_read_b64 v[3:4], v0 offset:872
	s_waitcnt lgkmcnt(0)
	v_add_co_u32_e32 v3, vcc, 1, v3
	v_addc_co_u32_e32 v4, vcc, 0, v4, vcc
	ds_write_b64 v0, v[3:4] offset:872
.LBB2_218:                              ;   in Loop: Header=BB2_197 Depth=2
	s_or_b64 exec, exec, s[26:27]
	v_mov_b32_e32 v39, v11
	v_mov_b32_e32 v38, v10
.LBB2_219:                              ;   in Loop: Header=BB2_197 Depth=2
	s_or_b64 exec, exec, s[76:77]
	s_xor_b64 s[26:27], s[42:43], -1
	s_and_b64 s[26:27], exec, s[26:27]
	s_or_b64 s[40:41], s[26:27], s[40:41]
	s_and_saveexec_b64 s[26:27], s[10:11]
	s_cbranch_execz .LBB2_238
; %bb.220:                              ;   in Loop: Header=BB2_197 Depth=2
	s_and_saveexec_b64 s[42:43], s[56:57]
	s_xor_b64 s[42:43], exec, s[42:43]
	s_cbranch_execz .LBB2_235
; %bb.221:                              ;   in Loop: Header=BB2_197 Depth=2
	s_and_saveexec_b64 s[76:77], s[16:17]
	s_cbranch_execz .LBB2_234
; %bb.222:                              ;   in Loop: Header=BB2_197 Depth=2
	s_mov_b64 s[88:89], exec
	v_mbcnt_lo_u32_b32 v3, s88, 0
	v_mbcnt_hi_u32_b32 v3, s89, v3
	v_cmp_eq_u32_e32 vcc, 0, v3
	s_waitcnt vmcnt(0) lgkmcnt(0)
	buffer_wbinvl1_vol
	s_and_saveexec_b64 s[78:79], vcc
	s_cbranch_execz .LBB2_224
; %bb.223:                              ;   in Loop: Header=BB2_197 Depth=2
	s_bcnt1_i32_b64 s75, s[88:89]
	v_mov_b32_e32 v3, s75
	v_mov_b32_e32 v4, v2
	ds_add_u64 v0, v[3:4]
	s_trap 2
.LBB2_224:                              ;   in Loop: Header=BB2_197 Depth=2
	s_or_b64 exec, exec, s[78:79]
	s_trap 2
	ds_read_b64 v[3:4], v0
	s_waitcnt lgkmcnt(0)
	v_add_co_u32_e32 v12, vcc, v12, v57
	v_addc_co_u32_e32 v13, vcc, 0, v13, vcc
	v_cmp_lt_u64_e32 vcc, v[3:4], v[12:13]
	s_and_saveexec_b64 s[78:79], vcc
	s_cbranch_execz .LBB2_233
; %bb.225:                              ;   in Loop: Header=BB2_197 Depth=2
	s_mov_b32 s75, 0
	s_mov_b64 s[88:89], 0
                                        ; implicit-def: $sgpr90_sgpr91
                                        ; implicit-def: $sgpr92_sgpr93
	s_branch .LBB2_227
.LBB2_226:                              ;   in Loop: Header=BB2_227 Depth=3
	s_or_b64 exec, exec, s[30:31]
	s_and_b64 s[94:95], exec, vcc
	s_or_b64 s[88:89], s[94:95], s[88:89]
	s_andn2_b64 s[90:91], s[90:91], exec
	s_and_b64 s[94:95], s[92:93], exec
	s_or_b64 s[90:91], s[90:91], s[94:95]
	s_andn2_b64 exec, exec, s[88:89]
	s_cbranch_execz .LBB2_231
.LBB2_227:                              ;   Parent Loop BB2_47 Depth=1
                                        ;     Parent Loop BB2_197 Depth=2
                                        ; =>    This Inner Loop Header: Depth=3
	s_add_i32 s75, s75, 1
	s_cmpk_lg_i32 s75, 0x2710
	s_cselect_b64 s[94:95], -1, 0
	s_and_b64 vcc, exec, s[94:95]
	s_cbranch_vccz .LBB2_229
; %bb.228:                              ;   in Loop: Header=BB2_227 Depth=3
	s_mov_b64 vcc, -1
	s_or_b64 s[92:93], s[92:93], exec
	s_and_saveexec_b64 s[30:31], s[94:95]
	s_cbranch_execz .LBB2_226
	s_branch .LBB2_230
.LBB2_229:                              ;   in Loop: Header=BB2_227 Depth=3
	s_trap 2
	ds_read_b64 v[3:4], v0
	s_andn2_b64 s[94:95], s[94:95], exec
	s_mov_b32 s75, 0
	s_waitcnt lgkmcnt(0)
	flat_load_dword v3, v[3:4] glc
	s_waitcnt vmcnt(0) lgkmcnt(0)
	buffer_wbinvl1_vol
	v_cmp_eq_u32_e32 vcc, 0, v3
	s_and_b64 vcc, vcc, exec
	s_or_b64 s[94:95], s[94:95], vcc
	s_mov_b64 vcc, -1
	s_or_b64 s[92:93], s[92:93], exec
	s_and_saveexec_b64 s[30:31], s[94:95]
	s_cbranch_execz .LBB2_226
.LBB2_230:                              ;   in Loop: Header=BB2_227 Depth=3
	s_sleep 1
	s_trap 2
	ds_read_b64 v[3:4], v0
	s_waitcnt lgkmcnt(0)
	s_andn2_b64 s[92:93], s[92:93], exec
	v_cmp_ge_u64_e32 vcc, v[3:4], v[12:13]
	s_orn2_b64 vcc, vcc, exec
	s_branch .LBB2_226
.LBB2_231:                              ;   in Loop: Header=BB2_197 Depth=2
	s_or_b64 exec, exec, s[88:89]
	s_and_saveexec_b64 s[88:89], s[90:91]
	s_xor_b64 s[88:89], exec, s[88:89]
	s_cbranch_execz .LBB2_233
; %bb.232:                              ;   in Loop: Header=BB2_197 Depth=2
	ds_write_b32 v0, v62
	s_trap 2
.LBB2_233:                              ;   in Loop: Header=BB2_197 Depth=2
	s_or_b64 exec, exec, s[78:79]
	;;#ASMSTART
	s_wakeup
	;;#ASMEND
.LBB2_234:                              ;   in Loop: Header=BB2_197 Depth=2
	s_or_b64 exec, exec, s[76:77]
.LBB2_235:                              ;   in Loop: Header=BB2_197 Depth=2
	s_andn2_saveexec_b64 s[42:43], s[42:43]
	s_cbranch_execz .LBB2_237
; %bb.236:                              ;   in Loop: Header=BB2_197 Depth=2
	s_waitcnt vmcnt(0) lgkmcnt(0)
	buffer_wbinvl1_vol
	s_barrier
.LBB2_237:                              ;   in Loop: Header=BB2_197 Depth=2
	s_or_b64 exec, exec, s[42:43]
.LBB2_238:                              ;   in Loop: Header=BB2_197 Depth=2
	s_or_b64 exec, exec, s[26:27]
	v_and_b32_e32 v3, 16, v47
	s_and_saveexec_b64 s[26:27], s[24:25]
	s_xor_b64 s[26:27], exec, s[26:27]
	s_cbranch_execz .LBB2_243
; %bb.239:                              ;   in Loop: Header=BB2_197 Depth=2
	s_trap 2
	ds_read_b32 v3, v0
	v_cmp_lt_i32_e32 vcc, 0, v8
	v_and_b32_e32 v4, 16, v47
	s_waitcnt lgkmcnt(0)
	v_readfirstlane_b32 s42, v3
	s_cmp_eq_u32 s42, 0
	s_cselect_b64 s[42:43], -1, 0
	s_and_b64 s[42:43], vcc, s[42:43]
	v_cmp_ne_u32_e32 vcc, 0, v4
	v_and_b32_e32 v3, 16, v47
	s_and_b64 s[76:77], vcc, s[42:43]
	s_and_saveexec_b64 s[42:43], s[76:77]
	s_cbranch_execz .LBB2_241
; %bb.240:                              ;   in Loop: Header=BB2_197 Depth=2
	v_mov_b32_e32 v3, 1
	s_waitcnt vmcnt(0)
	buffer_wbinvl1_vol
.LBB2_241:                              ;   in Loop: Header=BB2_197 Depth=2
	s_or_b64 exec, exec, s[42:43]
	s_andn2_saveexec_b64 s[26:27], s[26:27]
	s_cbranch_execnz .LBB2_244
.LBB2_242:                              ;   in Loop: Header=BB2_197 Depth=2
	s_or_b64 exec, exec, s[26:27]
	v_cmp_ne_u32_e32 vcc, 0, v3
	s_and_saveexec_b64 s[26:27], vcc
	s_cbranch_execz .LBB2_196
	s_branch .LBB2_262
.LBB2_243:                              ;   in Loop: Header=BB2_197 Depth=2
	s_andn2_saveexec_b64 s[26:27], s[26:27]
	s_cbranch_execz .LBB2_242
.LBB2_244:                              ;   in Loop: Header=BB2_197 Depth=2
	s_and_saveexec_b64 s[42:43], s[56:57]
	s_xor_b64 s[42:43], exec, s[42:43]
	s_cbranch_execz .LBB2_259
; %bb.245:                              ;   in Loop: Header=BB2_197 Depth=2
	s_and_saveexec_b64 s[76:77], s[16:17]
	s_cbranch_execz .LBB2_258
; %bb.246:                              ;   in Loop: Header=BB2_197 Depth=2
	s_mov_b64 s[88:89], exec
	v_mbcnt_lo_u32_b32 v4, s88, 0
	v_mbcnt_hi_u32_b32 v4, s89, v4
	v_cmp_eq_u32_e32 vcc, 0, v4
	;;#ASMSTART
	s_waitcnt lgkmcnt(0) vmcnt(0)
	;;#ASMEND
	s_and_saveexec_b64 s[78:79], vcc
	s_cbranch_execz .LBB2_248
; %bb.247:                              ;   in Loop: Header=BB2_197 Depth=2
	s_bcnt1_i32_b64 s75, s[88:89]
	v_mov_b32_e32 v4, s75
	v_mov_b32_e32 v5, v2
	s_waitcnt lgkmcnt(0)
	ds_add_u64 v0, v[4:5]
	s_trap 2
.LBB2_248:                              ;   in Loop: Header=BB2_197 Depth=2
	s_or_b64 exec, exec, s[78:79]
	s_trap 2
	ds_read_b64 v[4:5], v0
	s_waitcnt lgkmcnt(0)
	v_add_co_u32_e32 v12, vcc, v12, v57
	v_addc_co_u32_e32 v13, vcc, 0, v13, vcc
	v_cmp_lt_u64_e32 vcc, v[4:5], v[12:13]
	s_and_saveexec_b64 s[78:79], vcc
	s_cbranch_execz .LBB2_257
; %bb.249:                              ;   in Loop: Header=BB2_197 Depth=2
	s_mov_b32 s75, 0
	s_mov_b64 s[88:89], 0
                                        ; implicit-def: $sgpr90_sgpr91
                                        ; implicit-def: $sgpr92_sgpr93
	s_branch .LBB2_251
.LBB2_250:                              ;   in Loop: Header=BB2_251 Depth=3
	s_or_b64 exec, exec, s[30:31]
	s_and_b64 s[94:95], exec, vcc
	s_or_b64 s[88:89], s[94:95], s[88:89]
	s_andn2_b64 s[90:91], s[90:91], exec
	s_and_b64 s[94:95], s[92:93], exec
	s_or_b64 s[90:91], s[90:91], s[94:95]
	s_andn2_b64 exec, exec, s[88:89]
	s_cbranch_execz .LBB2_255
.LBB2_251:                              ;   Parent Loop BB2_47 Depth=1
                                        ;     Parent Loop BB2_197 Depth=2
                                        ; =>    This Inner Loop Header: Depth=3
	s_add_i32 s75, s75, 1
	s_cmpk_lg_i32 s75, 0x2710
	s_cselect_b64 s[94:95], -1, 0
	s_and_b64 vcc, exec, s[94:95]
	s_cbranch_vccz .LBB2_253
; %bb.252:                              ;   in Loop: Header=BB2_251 Depth=3
	s_mov_b64 vcc, -1
	s_or_b64 s[92:93], s[92:93], exec
	s_and_saveexec_b64 s[30:31], s[94:95]
	s_cbranch_execz .LBB2_250
	s_branch .LBB2_254
.LBB2_253:                              ;   in Loop: Header=BB2_251 Depth=3
	s_trap 2
	ds_read_b64 v[4:5], v0
	s_andn2_b64 s[94:95], s[94:95], exec
	s_mov_b32 s75, 0
	s_waitcnt vmcnt(0) lgkmcnt(0)
	flat_load_dword v4, v[4:5] glc
	s_waitcnt vmcnt(0) lgkmcnt(0)
	buffer_wbinvl1_vol
	v_cmp_eq_u32_e32 vcc, 0, v4
	s_and_b64 vcc, vcc, exec
	s_or_b64 s[94:95], s[94:95], vcc
	s_mov_b64 vcc, -1
	s_or_b64 s[92:93], s[92:93], exec
	s_and_saveexec_b64 s[30:31], s[94:95]
	s_cbranch_execz .LBB2_250
.LBB2_254:                              ;   in Loop: Header=BB2_251 Depth=3
	s_sleep 1
	s_trap 2
	ds_read_b64 v[4:5], v0
	s_waitcnt lgkmcnt(0)
	s_andn2_b64 s[92:93], s[92:93], exec
	v_cmp_ge_u64_e32 vcc, v[4:5], v[12:13]
	s_orn2_b64 vcc, vcc, exec
	s_branch .LBB2_250
.LBB2_255:                              ;   in Loop: Header=BB2_197 Depth=2
	s_or_b64 exec, exec, s[88:89]
	s_and_saveexec_b64 s[88:89], s[90:91]
	s_xor_b64 s[88:89], exec, s[88:89]
	s_cbranch_execz .LBB2_257
; %bb.256:                              ;   in Loop: Header=BB2_197 Depth=2
	ds_write_b32 v0, v62
	s_trap 2
.LBB2_257:                              ;   in Loop: Header=BB2_197 Depth=2
	s_or_b64 exec, exec, s[78:79]
	;;#ASMSTART
	s_wakeup
	;;#ASMEND
.LBB2_258:                              ;   in Loop: Header=BB2_197 Depth=2
	s_or_b64 exec, exec, s[76:77]
.LBB2_259:                              ;   in Loop: Header=BB2_197 Depth=2
	s_andn2_saveexec_b64 s[42:43], s[42:43]
	s_cbranch_execz .LBB2_261
; %bb.260:                              ;   in Loop: Header=BB2_197 Depth=2
	;;#ASMSTART
	s_waitcnt lgkmcnt(0) vmcnt(0)
	;;#ASMEND
	s_waitcnt vmcnt(0) lgkmcnt(0)
	s_barrier
.LBB2_261:                              ;   in Loop: Header=BB2_197 Depth=2
	s_or_b64 exec, exec, s[42:43]
	s_or_b64 exec, exec, s[26:27]
	v_cmp_ne_u32_e32 vcc, 0, v3
	s_and_saveexec_b64 s[26:27], vcc
	s_cbranch_execz .LBB2_196
.LBB2_262:                              ;   in Loop: Header=BB2_197 Depth=2
	s_and_saveexec_b64 s[42:43], s[14:15]
	s_cbranch_execz .LBB2_195
; %bb.263:                              ;   in Loop: Header=BB2_197 Depth=2
	flat_store_dword v[24:25], v62
	s_branch .LBB2_195
.LBB2_264:                              ;   in Loop: Header=BB2_47 Depth=1
	s_or_b64 exec, exec, s[40:41]
.LBB2_265:                              ;   in Loop: Header=BB2_47 Depth=1
	s_or_b64 exec, exec, s[28:29]
	v_cndmask_b32_e64 v1, 0, 1, s[60:61]
	v_cmp_ne_u32_e64 s[26:27], 1, v1
	s_andn2_b64 vcc, exec, s[60:61]
	s_cbranch_vccnz .LBB2_488
; %bb.266:                              ;   in Loop: Header=BB2_47 Depth=1
	s_mov_b32 s75, 2
	s_branch .LBB2_269
.LBB2_267:                              ;   in Loop: Header=BB2_269 Depth=2
	s_or_b64 exec, exec, s[42:43]
.LBB2_268:                              ;   in Loop: Header=BB2_269 Depth=2
	s_or_b64 exec, exec, s[40:41]
	s_add_i32 s75, s75, 1
	s_cmp_eq_u32 s75, s52
	s_cbranch_scc1 .LBB2_488
.LBB2_269:                              ;   Parent Loop BB2_47 Depth=1
                                        ; =>  This Loop Header: Depth=2
                                        ;       Child Loop BB2_272 Depth 3
                                        ;         Child Loop BB2_280 Depth 4
                                        ;         Child Loop BB2_308 Depth 4
                                        ;         Child Loop BB2_327 Depth 4
                                        ;         Child Loop BB2_349 Depth 4
                                        ;         Child Loop BB2_354 Depth 4
                                        ;         Child Loop BB2_360 Depth 4
                                        ;         Child Loop BB2_365 Depth 4
                                        ;         Child Loop BB2_374 Depth 4
                                        ;         Child Loop BB2_397 Depth 4
                                        ;       Child Loop BB2_416 Depth 3
                                        ;         Child Loop BB2_422 Depth 4
                                        ;         Child Loop BB2_450 Depth 4
                                        ;         Child Loop BB2_469 Depth 4
	buffer_load_dword v5, off, s[0:3], s33 offset:108 ; 4-byte Folded Reload
	buffer_load_dword v6, off, s[0:3], s33 offset:112 ; 4-byte Folded Reload
	s_sub_i32 s28, s82, s75
	s_cmp_ge_i32 s28, s52
	s_cselect_b32 s29, s52, 0
	s_sub_i32 s28, s28, s29
	s_ashr_i32 s40, s28, 31
	v_mov_b32_e32 v44, 0
	s_waitcnt vmcnt(0)
	v_mul_lo_u32 v3, v5, s40
	v_mul_lo_u32 v1, v6, s28
	v_mad_u64_u32 v[10:11], s[28:29], v5, s28, 0
	v_add3_u32 v11, v11, v3, v1
	buffer_load_dword v3, off, s[0:3], s33 offset:100 ; 4-byte Folded Reload
	buffer_load_dword v4, off, s[0:3], s33 offset:104 ; 4-byte Folded Reload
	s_waitcnt vmcnt(0)
	v_sub_co_u32_e32 v3, vcc, v3, v10
	v_subb_co_u32_e32 v4, vcc, v4, v11, vcc
	v_cmp_lt_i64_e32 vcc, v[5:6], v[3:4]
	v_cndmask_b32_e32 v3, v3, v5, vcc
	v_max_i32_e32 v1, 0, v3
	v_add_u32_e32 v4, 31, v1
	v_lshrrev_b32_e32 v4, 1, v4
	v_and_b32_e32 v4, 0x3ffffff0, v4
	v_cmp_lt_i32_e32 vcc, 0, v3
	v_max_i32_e32 v8, s85, v4
	s_and_b64 s[28:29], s[72:73], vcc
	v_mov_b32_e32 v3, 0
	s_and_saveexec_b64 s[40:41], s[28:29]
	s_cbranch_execz .LBB2_413
; %bb.270:                              ;   in Loop: Header=BB2_269 Depth=2
	s_mov_b32 s97, 1
	s_mov_b64 s[76:77], -1
	v_mov_b32_e32 v44, 0
	s_mov_b64 s[42:43], 0
	s_branch .LBB2_272
.LBB2_271:                              ;   in Loop: Header=BB2_272 Depth=3
	s_or_b64 exec, exec, s[28:29]
	v_add_u32_e32 v44, v8, v44
	v_cmp_ge_i32_e32 vcc, v44, v1
	s_xor_b64 s[28:29], s[76:77], -1
	s_or_b64 s[28:29], s[28:29], vcc
	s_and_b64 s[28:29], exec, s[28:29]
	s_or_b64 s[42:43], s[28:29], s[42:43]
	s_mov_b64 s[76:77], 0
	v_mov_b32_e32 v3, s97
	s_mov_b32 s97, 2
	s_andn2_b64 exec, exec, s[42:43]
	s_cbranch_execz .LBB2_412
.LBB2_272:                              ;   Parent Loop BB2_47 Depth=1
                                        ;     Parent Loop BB2_269 Depth=2
                                        ; =>    This Loop Header: Depth=3
                                        ;         Child Loop BB2_280 Depth 4
                                        ;         Child Loop BB2_308 Depth 4
	;; [unrolled: 1-line block ×9, first 2 shown]
	s_and_saveexec_b64 s[28:29], s[4:5]
	s_cbranch_execz .LBB2_274
; %bb.273:                              ;   in Loop: Header=BB2_272 Depth=3
	s_trap 2
	buffer_load_dword v5, off, s[0:3], s33 offset:68 ; 4-byte Folded Reload
	ds_read_b64 v[3:4], v0
	s_waitcnt vmcnt(0) lgkmcnt(0)
	v_add_co_u32_e32 v3, vcc, v3, v5
	buffer_load_dword v5, off, s[0:3], s33 offset:72 ; 4-byte Folded Reload
	s_waitcnt vmcnt(0)
	v_addc_co_u32_e32 v4, vcc, v4, v5, vcc
	v_add_co_u32_e32 v3, vcc, v3, v10
	v_addc_co_u32_e32 v4, vcc, v4, v11, vcc
	v_ashrrev_i32_e32 v5, 31, v44
	v_add_co_u32_e32 v3, vcc, v3, v44
	v_addc_co_u32_e32 v4, vcc, v4, v5, vcc
	ds_write_b64 v0, v[3:4]
	v_mov_b32_e32 v3, v2
	ds_write_b64 v0, v[2:3]
.LBB2_274:                              ;   in Loop: Header=BB2_272 Depth=3
	s_or_b64 exec, exec, s[28:29]
	v_sub_u32_e32 v3, v1, v44
	v_min_i32_e32 v8, v8, v3
	v_and_b32_e32 v3, 12, v47
	v_cmp_ne_u32_e32 vcc, 0, v3
	s_and_saveexec_b64 s[78:79], vcc
	s_cbranch_execz .LBB2_300
; %bb.275:                              ;   in Loop: Header=BB2_272 Depth=3
	v_and_b32_e32 v3, 8, v47
	s_waitcnt vmcnt(0) lgkmcnt(0)
	v_add_co_u32_e32 v4, vcc, v26, v3
	v_addc_co_u32_e32 v5, vcc, 0, v27, vcc
	v_add_co_u32_e32 v50, vcc, 2, v38
	v_addc_co_u32_e32 v51, vcc, 0, v39, vcc
	v_cmp_lt_u64_e32 vcc, v[4:5], v[50:51]
	s_and_saveexec_b64 s[88:89], vcc
	s_cbranch_execz .LBB2_287
; %bb.276:                              ;   in Loop: Header=BB2_272 Depth=3
	v_and_b32_e32 v4, 64, v47
	s_mov_b32 s98, 0
	v_cmp_eq_u32_e32 vcc, 0, v4
	s_mov_b64 s[90:91], 0
                                        ; implicit-def: $sgpr92_sgpr93
                                        ; implicit-def: $sgpr94_sgpr95
                                        ; implicit-def: $sgpr30_sgpr31
	s_branch .LBB2_280
.LBB2_277:                              ;   in Loop: Header=BB2_280 Depth=4
	s_waitcnt vmcnt(0) lgkmcnt(0)
	v_add_co_u32_e64 v4, s[28:29], v26, v3
	v_addc_co_u32_e64 v5, s[28:29], 0, v27, s[28:29]
	v_cmp_ge_u64_e64 s[28:29], v[4:5], v[50:51]
	s_or_b64 s[38:39], s[38:39], exec
	s_orn2_b64 s[36:37], s[28:29], exec
.LBB2_278:                              ;   in Loop: Header=BB2_280 Depth=4
	s_or_b64 exec, exec, s[50:51]
	s_andn2_b64 s[28:29], s[30:31], exec
	s_and_b64 s[30:31], s[38:39], exec
	s_or_b64 s[30:31], s[28:29], s[30:31]
	s_andn2_b64 s[28:29], s[94:95], exec
	s_and_b64 s[94:95], s[36:37], exec
	s_or_b64 s[94:95], s[28:29], s[94:95]
.LBB2_279:                              ;   in Loop: Header=BB2_280 Depth=4
	s_or_b64 exec, exec, s[34:35]
	s_and_b64 s[28:29], exec, s[94:95]
	s_or_b64 s[90:91], s[28:29], s[90:91]
	s_andn2_b64 s[28:29], s[92:93], exec
	s_and_b64 s[92:93], s[30:31], exec
	s_or_b64 s[92:93], s[28:29], s[92:93]
	s_andn2_b64 exec, exec, s[90:91]
	s_cbranch_execz .LBB2_284
.LBB2_280:                              ;   Parent Loop BB2_47 Depth=1
                                        ;     Parent Loop BB2_269 Depth=2
                                        ;       Parent Loop BB2_272 Depth=3
                                        ; =>      This Inner Loop Header: Depth=4
	s_sleep 1
	s_waitcnt vmcnt(0) lgkmcnt(0)
	flat_load_dwordx2 v[26:27], v[20:21] glc
	s_or_b64 s[30:31], s[30:31], exec
	s_or_b64 s[94:95], s[94:95], exec
                                        ; implicit-def: $vgpr9
	s_and_saveexec_b64 s[34:35], vcc
	s_cbranch_execz .LBB2_279
; %bb.281:                              ;   in Loop: Header=BB2_280 Depth=4
	s_cmpk_lt_i32 s98, 0x270f
	s_cselect_b64 s[48:49], -1, 0
	s_cmpk_gt_i32 s98, 0x270e
	s_mov_b64 s[36:37], -1
	s_cbranch_scc0 .LBB2_283
; %bb.282:                              ;   in Loop: Header=BB2_280 Depth=4
	s_trap 2
	ds_read_b64 v[4:5], v0
	s_andn2_b64 s[48:49], s[48:49], exec
	s_mov_b32 s98, 0
	s_mov_b64 s[38:39], 0
	s_waitcnt vmcnt(0) lgkmcnt(0)
	flat_load_dword v9, v[4:5] glc
	s_waitcnt vmcnt(0) lgkmcnt(0)
	buffer_wbinvl1_vol
	v_cmp_eq_u32_e64 s[28:29], 0, v9
	s_and_b64 s[28:29], s[28:29], exec
	s_or_b64 s[48:49], s[48:49], s[28:29]
	s_and_saveexec_b64 s[50:51], s[48:49]
	s_cbranch_execz .LBB2_278
	s_branch .LBB2_277
.LBB2_283:                              ;   in Loop: Header=BB2_280 Depth=4
	s_add_i32 s98, s98, 1
	s_mov_b64 s[38:39], -1
                                        ; implicit-def: $vgpr9
	s_and_saveexec_b64 s[50:51], s[48:49]
	s_cbranch_execz .LBB2_278
	s_branch .LBB2_277
.LBB2_284:                              ;   in Loop: Header=BB2_272 Depth=3
	s_or_b64 exec, exec, s[90:91]
	s_xor_b64 s[28:29], s[92:93], -1
	s_and_saveexec_b64 s[90:91], s[28:29]
	s_xor_b64 s[28:29], exec, s[90:91]
	s_cbranch_execz .LBB2_286
; %bb.285:                              ;   in Loop: Header=BB2_272 Depth=3
	v_or_b32_e32 v47, 64, v47
	s_waitcnt lgkmcnt(0)
	ds_write_b32 v0, v9
	s_trap 2
.LBB2_286:                              ;   in Loop: Header=BB2_272 Depth=3
	s_or_b64 exec, exec, s[28:29]
.LBB2_287:                              ;   in Loop: Header=BB2_272 Depth=3
	s_or_b64 exec, exec, s[88:89]
	v_and_b32_e32 v4, 0x108, v47
	v_cmp_ne_u32_e32 vcc, s55, v4
	;;#ASMSTART
	s_wakeup
	;;#ASMEND
                                        ; implicit-def: $vgpr52_vgpr53
	s_and_saveexec_b64 s[28:29], vcc
	s_xor_b64 s[28:29], exec, s[28:29]
; %bb.288:                              ;   in Loop: Header=BB2_272 Depth=3
	v_and_b32_e32 v52, 7, v38
	v_mov_b32_e32 v53, v2
                                        ; implicit-def: $vgpr38_vgpr39
; %bb.289:                              ;   in Loop: Header=BB2_272 Depth=3
	s_andn2_saveexec_b64 s[28:29], s[28:29]
	s_cbranch_execz .LBB2_291
; %bb.290:                              ;   in Loop: Header=BB2_272 Depth=3
	v_and_b32_e32 v52, 7, v38
	v_mad_u64_u32 v[4:5], s[88:89], v52, 24, v[34:35]
	v_mov_b32_e32 v53, v2
	v_ashrrev_i32_e32 v9, 31, v8
	flat_store_dwordx2 v[4:5], v[8:9] offset:8
.LBB2_291:                              ;   in Loop: Header=BB2_272 Depth=3
	s_or_b64 exec, exec, s[28:29]
	v_and_b32_e32 v4, 0x100, v47
	v_cmp_ne_u32_e32 vcc, 0, v4
	s_mov_b64 s[28:29], -1
                                        ; implicit-def: $vgpr38_vgpr39
	s_and_saveexec_b64 s[88:89], vcc
	s_cbranch_execz .LBB2_295
; %bb.292:                              ;   in Loop: Header=BB2_272 Depth=3
	v_mad_u64_u32 v[54:55], s[28:29], v52, 24, v[34:35]
                                        ; implicit-def: $vgpr38_vgpr39
	v_mov_b32_e32 v4, v55
	v_mad_u64_u32 v[4:5], s[28:29], v53, 24, v[4:5]
	v_mov_b32_e32 v55, v4
	flat_load_dword v4, v[54:55]
	s_waitcnt vmcnt(0) lgkmcnt(0)
	v_cmp_ne_u32_e32 vcc, 1, v4
	v_cmp_eq_u32_e64 s[28:29], 1, v4
	s_and_saveexec_b64 s[90:91], s[28:29]
	s_cbranch_execz .LBB2_294
; %bb.293:                              ;   in Loop: Header=BB2_272 Depth=3
	flat_load_dword v38, v[54:55] offset:4 glc
	s_waitcnt vmcnt(0) lgkmcnt(0)
	v_ashrrev_i32_e32 v39, 31, v38
.LBB2_294:                              ;   in Loop: Header=BB2_272 Depth=3
	s_or_b64 exec, exec, s[90:91]
	s_orn2_b64 s[28:29], vcc, exec
.LBB2_295:                              ;   in Loop: Header=BB2_272 Depth=3
	s_or_b64 exec, exec, s[88:89]
	s_and_saveexec_b64 s[88:89], s[28:29]
	s_cbranch_execz .LBB2_297
; %bb.296:                              ;   in Loop: Header=BB2_272 Depth=3
	v_mul_lo_u32 v4, v53, v56
	v_mul_lo_u32 v5, v52, v59
	v_mad_u64_u32 v[38:39], s[28:29], v52, v56, 0
	v_add3_u32 v39, v39, v5, v4
.LBB2_297:                              ;   in Loop: Header=BB2_272 Depth=3
	s_or_b64 exec, exec, s[88:89]
	v_cmp_eq_u32_e32 vcc, 0, v3
	v_cndmask_b32_e32 v5, v43, v19, vcc
	v_add_co_u32_e32 v3, vcc, v22, v38
	v_addc_co_u32_e32 v4, vcc, v23, v39, vcc
	v_add_u32_e32 v5, v0, v5
	ds_write_b64 v5, v[3:4] offset:584
	v_and_b32_e32 v3, 0x2000, v47
	v_cmp_ne_u32_e32 vcc, 0, v3
	s_and_saveexec_b64 s[28:29], vcc
	s_cbranch_execz .LBB2_299
; %bb.298:                              ;   in Loop: Header=BB2_272 Depth=3
	ds_read_b64 v[3:4], v0 offset:872
	s_waitcnt lgkmcnt(0)
	v_add_co_u32_e32 v3, vcc, 1, v3
	v_addc_co_u32_e32 v4, vcc, 0, v4, vcc
	ds_write_b64 v0, v[3:4] offset:872
.LBB2_299:                              ;   in Loop: Header=BB2_272 Depth=3
	s_or_b64 exec, exec, s[28:29]
	v_mov_b32_e32 v38, v50
	v_mov_b32_e32 v39, v51
.LBB2_300:                              ;   in Loop: Header=BB2_272 Depth=3
	s_or_b64 exec, exec, s[78:79]
	s_and_saveexec_b64 s[28:29], s[10:11]
	s_cbranch_execz .LBB2_319
; %bb.301:                              ;   in Loop: Header=BB2_272 Depth=3
	s_and_saveexec_b64 s[78:79], s[56:57]
	s_xor_b64 s[78:79], exec, s[78:79]
	s_cbranch_execz .LBB2_316
; %bb.302:                              ;   in Loop: Header=BB2_272 Depth=3
	s_and_saveexec_b64 s[88:89], s[16:17]
	s_cbranch_execz .LBB2_315
; %bb.303:                              ;   in Loop: Header=BB2_272 Depth=3
	s_mov_b64 s[92:93], exec
	v_mbcnt_lo_u32_b32 v3, s92, 0
	v_mbcnt_hi_u32_b32 v3, s93, v3
	v_cmp_eq_u32_e32 vcc, 0, v3
	s_waitcnt vmcnt(0) lgkmcnt(0)
	buffer_wbinvl1_vol
	s_and_saveexec_b64 s[90:91], vcc
	s_cbranch_execz .LBB2_305
; %bb.304:                              ;   in Loop: Header=BB2_272 Depth=3
	s_bcnt1_i32_b64 s92, s[92:93]
	v_mov_b32_e32 v3, s92
	v_mov_b32_e32 v4, v2
	ds_add_u64 v0, v[3:4]
	s_trap 2
.LBB2_305:                              ;   in Loop: Header=BB2_272 Depth=3
	s_or_b64 exec, exec, s[90:91]
	s_trap 2
	ds_read_b64 v[3:4], v0
	s_waitcnt lgkmcnt(0)
	v_add_co_u32_e32 v12, vcc, v12, v57
	v_addc_co_u32_e32 v13, vcc, 0, v13, vcc
	v_cmp_lt_u64_e32 vcc, v[3:4], v[12:13]
	s_and_saveexec_b64 s[90:91], vcc
	s_cbranch_execz .LBB2_314
; %bb.306:                              ;   in Loop: Header=BB2_272 Depth=3
	s_mov_b32 s38, 0
	s_mov_b64 s[92:93], 0
                                        ; implicit-def: $sgpr94_sgpr95
                                        ; implicit-def: $sgpr30_sgpr31
	s_branch .LBB2_308
.LBB2_307:                              ;   in Loop: Header=BB2_308 Depth=4
	s_or_b64 exec, exec, s[36:37]
	s_and_b64 vcc, exec, vcc
	s_or_b64 s[92:93], vcc, s[92:93]
	s_andn2_b64 s[94:95], s[94:95], exec
	s_and_b64 vcc, s[30:31], exec
	s_or_b64 s[94:95], s[94:95], vcc
	s_andn2_b64 exec, exec, s[92:93]
	s_cbranch_execz .LBB2_312
.LBB2_308:                              ;   Parent Loop BB2_47 Depth=1
                                        ;     Parent Loop BB2_269 Depth=2
                                        ;       Parent Loop BB2_272 Depth=3
                                        ; =>      This Inner Loop Header: Depth=4
	s_add_i32 s38, s38, 1
	s_cmpk_lg_i32 s38, 0x2710
	s_cselect_b64 s[34:35], -1, 0
	s_and_b64 vcc, exec, s[34:35]
	s_cbranch_vccz .LBB2_310
; %bb.309:                              ;   in Loop: Header=BB2_308 Depth=4
	s_mov_b64 vcc, -1
	s_or_b64 s[30:31], s[30:31], exec
	s_and_saveexec_b64 s[36:37], s[34:35]
	s_cbranch_execz .LBB2_307
	s_branch .LBB2_311
.LBB2_310:                              ;   in Loop: Header=BB2_308 Depth=4
	s_trap 2
	ds_read_b64 v[3:4], v0
	s_andn2_b64 s[34:35], s[34:35], exec
	s_mov_b32 s38, 0
	s_waitcnt lgkmcnt(0)
	flat_load_dword v3, v[3:4] glc
	s_waitcnt vmcnt(0) lgkmcnt(0)
	buffer_wbinvl1_vol
	v_cmp_eq_u32_e32 vcc, 0, v3
	s_and_b64 vcc, vcc, exec
	s_or_b64 s[34:35], s[34:35], vcc
	s_mov_b64 vcc, -1
	s_or_b64 s[30:31], s[30:31], exec
	s_and_saveexec_b64 s[36:37], s[34:35]
	s_cbranch_execz .LBB2_307
.LBB2_311:                              ;   in Loop: Header=BB2_308 Depth=4
	s_sleep 1
	s_trap 2
	ds_read_b64 v[3:4], v0
	s_waitcnt lgkmcnt(0)
	s_andn2_b64 s[30:31], s[30:31], exec
	v_cmp_ge_u64_e32 vcc, v[3:4], v[12:13]
	s_orn2_b64 vcc, vcc, exec
	s_branch .LBB2_307
.LBB2_312:                              ;   in Loop: Header=BB2_272 Depth=3
	s_or_b64 exec, exec, s[92:93]
	s_and_saveexec_b64 s[92:93], s[94:95]
	s_xor_b64 s[92:93], exec, s[92:93]
	s_cbranch_execz .LBB2_314
; %bb.313:                              ;   in Loop: Header=BB2_272 Depth=3
	ds_write_b32 v0, v62
	s_trap 2
.LBB2_314:                              ;   in Loop: Header=BB2_272 Depth=3
	s_or_b64 exec, exec, s[90:91]
	;;#ASMSTART
	s_wakeup
	;;#ASMEND
.LBB2_315:                              ;   in Loop: Header=BB2_272 Depth=3
	s_or_b64 exec, exec, s[88:89]
.LBB2_316:                              ;   in Loop: Header=BB2_272 Depth=3
	s_andn2_saveexec_b64 s[78:79], s[78:79]
	s_cbranch_execz .LBB2_318
; %bb.317:                              ;   in Loop: Header=BB2_272 Depth=3
	s_waitcnt vmcnt(0) lgkmcnt(0)
	buffer_wbinvl1_vol
	s_barrier
.LBB2_318:                              ;   in Loop: Header=BB2_272 Depth=3
	s_or_b64 exec, exec, s[78:79]
.LBB2_319:                              ;   in Loop: Header=BB2_272 Depth=3
	s_or_b64 exec, exec, s[28:29]
	s_trap 2
	ds_read_b32 v3, v0
	v_and_b32_e32 v4, 0x4000, v47
	v_cmp_ne_u32_e32 vcc, 0, v4
	s_xor_b64 s[28:29], s[6:7], -1
	s_and_b64 s[78:79], s[28:29], vcc
	s_and_saveexec_b64 s[28:29], s[78:79]
	s_cbranch_execz .LBB2_338
; %bb.320:                              ;   in Loop: Header=BB2_272 Depth=3
	s_and_saveexec_b64 s[78:79], s[56:57]
	s_xor_b64 s[78:79], exec, s[78:79]
	s_cbranch_execz .LBB2_335
; %bb.321:                              ;   in Loop: Header=BB2_272 Depth=3
	s_and_saveexec_b64 s[88:89], s[16:17]
	s_cbranch_execz .LBB2_334
; %bb.322:                              ;   in Loop: Header=BB2_272 Depth=3
	s_mov_b64 s[92:93], exec
	v_mbcnt_lo_u32_b32 v4, s92, 0
	v_mbcnt_hi_u32_b32 v4, s93, v4
	v_cmp_eq_u32_e32 vcc, 0, v4
	s_waitcnt vmcnt(0) lgkmcnt(0)
	buffer_wbinvl1_vol
	s_and_saveexec_b64 s[90:91], vcc
	s_cbranch_execz .LBB2_324
; %bb.323:                              ;   in Loop: Header=BB2_272 Depth=3
	s_bcnt1_i32_b64 s92, s[92:93]
	v_mov_b32_e32 v4, s92
	v_mov_b32_e32 v5, v2
	ds_add_u64 v0, v[4:5]
	s_trap 2
.LBB2_324:                              ;   in Loop: Header=BB2_272 Depth=3
	s_or_b64 exec, exec, s[90:91]
	s_trap 2
	ds_read_b64 v[4:5], v0
	s_waitcnt lgkmcnt(0)
	v_add_co_u32_e32 v12, vcc, v12, v57
	v_addc_co_u32_e32 v13, vcc, 0, v13, vcc
	v_cmp_lt_u64_e32 vcc, v[4:5], v[12:13]
	s_and_saveexec_b64 s[90:91], vcc
	s_cbranch_execz .LBB2_333
; %bb.325:                              ;   in Loop: Header=BB2_272 Depth=3
	s_mov_b32 s38, 0
	s_mov_b64 s[92:93], 0
                                        ; implicit-def: $sgpr94_sgpr95
                                        ; implicit-def: $sgpr30_sgpr31
	s_branch .LBB2_327
.LBB2_326:                              ;   in Loop: Header=BB2_327 Depth=4
	s_or_b64 exec, exec, s[36:37]
	s_and_b64 vcc, exec, vcc
	s_or_b64 s[92:93], vcc, s[92:93]
	s_andn2_b64 s[94:95], s[94:95], exec
	s_and_b64 vcc, s[30:31], exec
	s_or_b64 s[94:95], s[94:95], vcc
	s_andn2_b64 exec, exec, s[92:93]
	s_cbranch_execz .LBB2_331
.LBB2_327:                              ;   Parent Loop BB2_47 Depth=1
                                        ;     Parent Loop BB2_269 Depth=2
                                        ;       Parent Loop BB2_272 Depth=3
                                        ; =>      This Inner Loop Header: Depth=4
	s_add_i32 s38, s38, 1
	s_cmpk_lg_i32 s38, 0x2710
	s_cselect_b64 s[34:35], -1, 0
	s_and_b64 vcc, exec, s[34:35]
	s_cbranch_vccz .LBB2_329
; %bb.328:                              ;   in Loop: Header=BB2_327 Depth=4
	s_mov_b64 vcc, -1
	s_or_b64 s[30:31], s[30:31], exec
	s_and_saveexec_b64 s[36:37], s[34:35]
	s_cbranch_execz .LBB2_326
	s_branch .LBB2_330
.LBB2_329:                              ;   in Loop: Header=BB2_327 Depth=4
	s_trap 2
	ds_read_b64 v[4:5], v0
	s_andn2_b64 s[34:35], s[34:35], exec
	s_mov_b32 s38, 0
	s_waitcnt lgkmcnt(0)
	flat_load_dword v4, v[4:5] glc
	s_waitcnt vmcnt(0) lgkmcnt(0)
	buffer_wbinvl1_vol
	v_cmp_eq_u32_e32 vcc, 0, v4
	s_and_b64 vcc, vcc, exec
	s_or_b64 s[34:35], s[34:35], vcc
	s_mov_b64 vcc, -1
	s_or_b64 s[30:31], s[30:31], exec
	s_and_saveexec_b64 s[36:37], s[34:35]
	s_cbranch_execz .LBB2_326
.LBB2_330:                              ;   in Loop: Header=BB2_327 Depth=4
	s_sleep 1
	s_trap 2
	ds_read_b64 v[4:5], v0
	s_waitcnt lgkmcnt(0)
	s_andn2_b64 s[30:31], s[30:31], exec
	v_cmp_ge_u64_e32 vcc, v[4:5], v[12:13]
	s_orn2_b64 vcc, vcc, exec
	s_branch .LBB2_326
.LBB2_331:                              ;   in Loop: Header=BB2_272 Depth=3
	s_or_b64 exec, exec, s[92:93]
	s_and_saveexec_b64 s[92:93], s[94:95]
	s_xor_b64 s[92:93], exec, s[92:93]
	s_cbranch_execz .LBB2_333
; %bb.332:                              ;   in Loop: Header=BB2_272 Depth=3
	ds_write_b32 v0, v62
	s_trap 2
.LBB2_333:                              ;   in Loop: Header=BB2_272 Depth=3
	s_or_b64 exec, exec, s[90:91]
	;;#ASMSTART
	s_wakeup
	;;#ASMEND
.LBB2_334:                              ;   in Loop: Header=BB2_272 Depth=3
	s_or_b64 exec, exec, s[88:89]
.LBB2_335:                              ;   in Loop: Header=BB2_272 Depth=3
	s_andn2_saveexec_b64 s[78:79], s[78:79]
	s_cbranch_execz .LBB2_337
; %bb.336:                              ;   in Loop: Header=BB2_272 Depth=3
	s_waitcnt vmcnt(0) lgkmcnt(0)
	buffer_wbinvl1_vol
	s_barrier
.LBB2_337:                              ;   in Loop: Header=BB2_272 Depth=3
	s_or_b64 exec, exec, s[78:79]
.LBB2_338:                              ;   in Loop: Header=BB2_272 Depth=3
	s_or_b64 exec, exec, s[28:29]
	s_trap 2
	ds_read_b64 v[52:53], v0
	s_waitcnt lgkmcnt(0)
	v_cmp_eq_u64_e32 vcc, 0, v[52:53]
	s_cbranch_vccnz .LBB2_346
; %bb.339:                              ;   in Loop: Header=BB2_272 Depth=3
	s_trap 2
	ds_read_b64 v[50:51], v0
	s_waitcnt lgkmcnt(0)
	v_cmp_eq_u64_e32 vcc, 0, v[50:51]
	s_cbranch_vccnz .LBB2_346
; %bb.340:                              ;   in Loop: Header=BB2_272 Depth=3
	s_mov_b64 s[28:29], -1
	s_and_saveexec_b64 s[78:79], s[22:23]
	s_cbranch_execz .LBB2_342
; %bb.341:                              ;   in Loop: Header=BB2_272 Depth=3
	ds_read_b32 v4, v0 offset:720
	s_waitcnt lgkmcnt(0)
	v_and_b32_e32 v4, 15, v4
	v_cmp_eq_u32_e32 vcc, 0, v4
	s_orn2_b64 s[28:29], vcc, exec
.LBB2_342:                              ;   in Loop: Header=BB2_272 Depth=3
	s_or_b64 exec, exec, s[78:79]
	s_and_saveexec_b64 s[78:79], s[20:21]
	s_cbranch_execz .LBB2_344
; %bb.343:                              ;   in Loop: Header=BB2_272 Depth=3
	ds_read_b32 v4, v0 offset:784
	s_waitcnt lgkmcnt(0)
	v_and_b32_e32 v4, 15, v4
	v_cmp_eq_u32_e32 vcc, 0, v4
	s_and_b64 s[88:89], s[28:29], vcc
	s_andn2_b64 s[28:29], s[28:29], exec
	s_and_b64 s[88:89], s[88:89], exec
	s_or_b64 s[28:29], s[28:29], s[88:89]
.LBB2_344:                              ;   in Loop: Header=BB2_272 Depth=3
	s_or_b64 exec, exec, s[78:79]
	v_cmp_eq_u32_e32 vcc, 0, v3
	s_xor_b64 s[28:29], s[28:29], -1
	v_cndmask_b32_e32 v3, 0, v8, vcc
	v_cndmask_b32_e64 v4, 0, 1, s[28:29]
	s_mov_b64 s[88:89], -1
	v_cmp_ne_u32_e32 vcc, 0, v4
	v_mov_b32_e32 v9, 0
	v_mov_b32_e32 v17, v3
	;; [unrolled: 1-line block ×3, first 2 shown]
	s_cbranch_vccz .LBB2_347
; %bb.345:                              ;   in Loop: Header=BB2_272 Depth=3
	s_and_saveexec_b64 s[28:29], s[88:89]
	s_cbranch_execnz .LBB2_358
	s_branch .LBB2_366
.LBB2_346:                              ;   in Loop: Header=BB2_272 Depth=3
	s_mov_b64 s[28:29], 0
	s_and_saveexec_b64 s[78:79], s[10:11]
	s_cbranch_execnz .LBB2_367
	s_branch .LBB2_385
.LBB2_347:                              ;   in Loop: Header=BB2_272 Depth=3
	v_ashrrev_i32_e32 v4, 31, v3
	v_lshrrev_b32_e32 v4, 22, v4
	v_add_u32_e32 v4, v3, v4
	v_ashrrev_i32_e32 v5, 10, v4
	v_and_b32_e32 v18, 0xfffffc00, v4
	buffer_load_dword v4, off, s[0:3], s33 offset:92 ; 4-byte Folded Reload
	v_sub_u32_e32 v49, v3, v18
	v_cmp_lt_i32_e32 vcc, 15, v49
	s_waitcnt vmcnt(0)
	v_sub_u32_e32 v9, v3, v46
	s_waitcnt vmcnt(0)
	v_sub_u32_e32 v4, v5, v4
	v_addc_co_u32_e64 v30, s[28:29], 0, v4, vcc
	v_cmp_lt_i32_e64 s[28:29], 15, v9
	s_and_saveexec_b64 s[78:79], s[28:29]
	s_cbranch_execz .LBB2_351
; %bb.348:                              ;   in Loop: Header=BB2_272 Depth=3
	s_trap 2
	ds_read_b64 v[4:5], v0
	v_add_co_u32_e64 v54, s[28:29], v52, v46
	v_addc_co_u32_e64 v55, s[28:29], 0, v53, s[28:29]
	s_waitcnt lgkmcnt(0)
	v_add_co_u32_e64 v40, s[28:29], v4, v46
	v_addc_co_u32_e64 v41, s[28:29], 0, v5, s[28:29]
	v_add_co_u32_e64 v42, s[28:29], v50, v46
	v_addc_co_u32_e64 v43, s[28:29], 0, v51, s[28:29]
	s_mov_b64 s[88:89], 0
.LBB2_349:                              ;   Parent Loop BB2_47 Depth=1
                                        ;     Parent Loop BB2_269 Depth=2
                                        ;       Parent Loop BB2_272 Depth=3
                                        ; =>      This Inner Loop Header: Depth=4
	global_load_dwordx4 v[34:37], v[54:55], off glc slc
	global_load_dwordx4 v[4:7], v[40:41], off glc slc
	v_add_co_u32_e64 v54, s[28:29], v54, v14
	v_addc_co_u32_e64 v55, s[28:29], 0, v55, s[28:29]
	v_add_co_u32_e64 v40, s[28:29], v40, v14
	v_addc_co_u32_e64 v41, s[28:29], 0, v41, s[28:29]
	v_sub_u32_e32 v9, v9, v14
	v_sub_u32_e32 v30, v30, v57
	s_waitcnt vmcnt(1)
	v_and_b32_e32 v48, 0xff00ff, v34
	s_waitcnt vmcnt(0)
	v_and_b32_e32 v16, 0xff00ff, v4
	v_and_b32_e32 v4, 0xff00ff00, v4
	;; [unrolled: 1-line block ×3, first 2 shown]
	v_add_u32_e32 v16, v16, v48
	v_add_u32_e32 v4, v4, v34
	v_and_b32_e32 v17, 0xff00ff, v5
	v_perm_b32 v4, v4, v16, s64
	v_and_b32_e32 v16, 0xff00ff, v35
	v_and_b32_e32 v5, 0xff00ff00, v5
	v_add_u32_e32 v16, v17, v16
	v_and_b32_e32 v17, 0xff00ff00, v35
	v_add_u32_e32 v5, v5, v17
	v_and_b32_e32 v19, 0xff00ff, v6
	v_and_b32_e32 v6, 0xff00ff00, v6
	v_perm_b32 v5, v5, v16, s64
	v_and_b32_e32 v16, 0xff00ff, v36
	v_and_b32_e32 v17, 0xff00ff00, v36
	v_add_u32_e32 v16, v19, v16
	v_add_u32_e32 v6, v6, v17
	v_and_b32_e32 v31, 0xff00ff, v7
	v_and_b32_e32 v7, 0xff00ff00, v7
	v_perm_b32 v6, v6, v16, s64
	v_and_b32_e32 v16, 0xff00ff, v37
	v_and_b32_e32 v17, 0xff00ff00, v37
	v_add_u32_e32 v16, v31, v16
	v_add_u32_e32 v7, v7, v17
	v_perm_b32 v7, v7, v16, s64
	global_store_dwordx4 v[42:43], v[4:7], off glc slc
	v_add_co_u32_e64 v42, s[28:29], v42, v14
	v_addc_co_u32_e64 v43, s[28:29], 0, v43, s[28:29]
	v_cmp_gt_i32_e64 s[28:29], 16, v9
	s_or_b64 s[88:89], s[28:29], s[88:89]
	s_andn2_b64 exec, exec, s[88:89]
	s_cbranch_execnz .LBB2_349
; %bb.350:                              ;   in Loop: Header=BB2_272 Depth=3
	s_or_b64 exec, exec, s[88:89]
	buffer_load_dword v34, off, s[0:3], s33 offset:76 ; 4-byte Folded Reload
	buffer_load_dword v35, off, s[0:3], s33 offset:80 ; 4-byte Folded Reload
	;; [unrolled: 1-line block ×4, first 2 shown]
	v_mov_b32_e32 v43, 0xc8
	v_mov_b32_e32 v19, 0x90
	;; [unrolled: 1-line block ×3, first 2 shown]
.LBB2_351:                              ;   in Loop: Header=BB2_272 Depth=3
	s_or_b64 exec, exec, s[78:79]
	v_and_b32_e32 v31, 15, v3
	v_cndmask_b32_e32 v16, v49, v31, vcc
	v_mov_b32_e32 v9, 0
	v_cmp_ne_u32_e64 s[28:29], 0, v16
	s_mov_b64 s[88:89], 0
                                        ; implicit-def: $vgpr17
                                        ; implicit-def: $vgpr48
	s_and_saveexec_b64 s[78:79], s[28:29]
	s_cbranch_execz .LBB2_357
; %bb.352:                              ;   in Loop: Header=BB2_272 Depth=3
	v_sub_u32_e32 v4, v49, v31
	v_cndmask_b32_e32 v4, 0, v4, vcc
	v_cmp_lt_i32_e32 vcc, 0, v30
	v_add_u32_e32 v9, v4, v18
	v_cndmask_b32_e32 v4, 0, v57, vcc
	v_sub_u32_e32 v4, v4, v30
	v_lshl_or_b32 v4, v4, 6, v58
	v_ashrrev_i32_e32 v5, 31, v4
	v_lshrrev_b32_e32 v5, 26, v5
	v_add_u32_e32 v5, v4, v5
	v_ashrrev_i32_e32 v6, 6, v5
	v_and_b32_e32 v5, 0xffffffc0, v5
	v_sub_u32_e32 v18, v4, v5
	v_lshlrev_b32_e32 v4, 4, v18
	v_lshl_add_u32 v31, v6, 10, v4
	v_ashrrev_i32_e32 v4, 31, v16
	v_lshrrev_b32_e32 v4, 22, v4
	v_add_u32_e32 v4, v16, v4
	v_and_b32_e32 v17, 0xfffffc00, v4
	v_sub_u32_e32 v30, v16, v17
	v_ashrrev_i32_e32 v5, 10, v4
	v_cmp_lt_i32_e32 vcc, 15, v30
	v_sub_u32_e32 v49, v16, v31
	v_addc_co_u32_e64 v4, s[28:29], 0, v5, vcc
	v_sub_u32_e32 v48, v4, v6
	v_cmp_lt_i32_e64 s[28:29], 15, v49
	s_and_saveexec_b64 s[88:89], s[28:29]
	s_cbranch_execz .LBB2_356
; %bb.353:                              ;   in Loop: Header=BB2_272 Depth=3
	s_trap 2
	ds_read_b64 v[4:5], v0
	v_add_u32_e32 v6, v31, v9
	v_ashrrev_i32_e32 v7, 31, v6
	v_add_co_u32_e64 v54, s[28:29], v6, v52
	v_addc_co_u32_e64 v55, s[28:29], v7, v53, s[28:29]
	s_waitcnt lgkmcnt(0)
	v_add_co_u32_e64 v40, s[28:29], v4, v6
	v_addc_co_u32_e64 v41, s[28:29], v5, v7, s[28:29]
	v_add_co_u32_e64 v42, s[28:29], v6, v50
	v_addc_co_u32_e64 v43, s[28:29], v7, v51, s[28:29]
	s_mov_b64 s[90:91], 0
.LBB2_354:                              ;   Parent Loop BB2_47 Depth=1
                                        ;     Parent Loop BB2_269 Depth=2
                                        ;       Parent Loop BB2_272 Depth=3
                                        ; =>      This Inner Loop Header: Depth=4
	global_load_dwordx4 v[4:7], v[54:55], off glc slc
	global_load_dwordx4 v[34:37], v[40:41], off glc slc
	v_add_co_u32_e64 v54, s[28:29], v54, v14
	v_addc_co_u32_e64 v55, s[28:29], 0, v55, s[28:29]
	v_add_co_u32_e64 v40, s[28:29], v40, v14
	v_addc_co_u32_e64 v41, s[28:29], 0, v41, s[28:29]
	v_sub_u32_e32 v49, v49, v14
	v_sub_u32_e32 v48, v48, v57
	s_waitcnt vmcnt(1)
	v_and_b32_e32 v58, 0xff00ff, v4
	s_waitcnt vmcnt(0)
	v_and_b32_e32 v19, 0xff00ff, v34
	v_and_b32_e32 v31, 0xff00ff00, v34
	;; [unrolled: 1-line block ×3, first 2 shown]
	v_add_u32_e32 v19, v19, v58
	v_add_u32_e32 v4, v31, v4
	v_and_b32_e32 v34, 0xff00ff, v35
	v_and_b32_e32 v35, 0xff00ff00, v35
	v_perm_b32 v4, v4, v19, s64
	v_and_b32_e32 v19, 0xff00ff, v5
	v_and_b32_e32 v5, 0xff00ff00, v5
	v_add_u32_e32 v19, v34, v19
	v_add_u32_e32 v5, v35, v5
	v_and_b32_e32 v45, 0xff00ff, v36
	v_and_b32_e32 v36, 0xff00ff00, v36
	v_perm_b32 v5, v5, v19, s64
	v_and_b32_e32 v19, 0xff00ff, v6
	v_and_b32_e32 v6, 0xff00ff00, v6
	;; [unrolled: 7-line block ×3, first 2 shown]
	v_add_u32_e32 v19, v46, v19
	v_add_u32_e32 v7, v37, v7
	v_perm_b32 v7, v7, v19, s64
	global_store_dwordx4 v[42:43], v[4:7], off glc slc
	v_add_co_u32_e64 v42, s[28:29], v42, v14
	v_addc_co_u32_e64 v43, s[28:29], 0, v43, s[28:29]
	v_cmp_gt_i32_e64 s[28:29], 16, v49
	s_or_b64 s[90:91], s[28:29], s[90:91]
	s_andn2_b64 exec, exec, s[90:91]
	s_cbranch_execnz .LBB2_354
; %bb.355:                              ;   in Loop: Header=BB2_272 Depth=3
	s_or_b64 exec, exec, s[90:91]
	buffer_load_dword v34, off, s[0:3], s33 offset:76 ; 4-byte Folded Reload
	buffer_load_dword v35, off, s[0:3], s33 offset:80 ; 4-byte Folded Reload
	;; [unrolled: 1-line block ×6, first 2 shown]
	v_mov_b32_e32 v43, 0xc8
	v_mov_b32_e32 v19, 0x90
	;; [unrolled: 1-line block ×3, first 2 shown]
.LBB2_356:                              ;   in Loop: Header=BB2_272 Depth=3
	s_or_b64 exec, exec, s[88:89]
	v_and_b32_e32 v4, 15, v16
	v_sub_u32_e32 v5, v30, v4
	v_cndmask_b32_e32 v5, 0, v5, vcc
	v_add3_u32 v9, v17, v9, v5
	v_cndmask_b32_e32 v17, v30, v4, vcc
	v_cmp_lt_i32_e32 vcc, 0, v48
	v_cndmask_b32_e32 v4, 0, v57, vcc
	v_sub_u32_e32 v4, v4, v48
	v_cmp_ne_u32_e32 vcc, 0, v17
	v_lshl_add_u32 v48, v4, 6, v18
	s_and_b64 s[88:89], vcc, exec
.LBB2_357:                              ;   in Loop: Header=BB2_272 Depth=3
	s_or_b64 exec, exec, s[78:79]
	v_lshlrev_b32_e32 v49, 11, v57
	s_and_saveexec_b64 s[28:29], s[88:89]
	s_cbranch_execz .LBB2_366
.LBB2_358:                              ;   in Loop: Header=BB2_272 Depth=3
	v_ashrrev_i32_e32 v4, 31, v48
	v_lshrrev_b32_e32 v4, 26, v4
	v_add_u32_e32 v31, v48, v4
	v_ashrrev_i32_e32 v4, 31, v17
	v_lshrrev_b32_e32 v4, 23, v4
	v_add_u32_e32 v4, v17, v4
	v_ashrrev_i32_e32 v16, 6, v31
	v_ashrrev_i32_e32 v30, 9, v4
	v_sub_u32_e32 v18, v30, v16
	v_cmp_lt_i32_e32 vcc, 0, v18
	s_and_saveexec_b64 s[78:79], vcc
	s_cbranch_execz .LBB2_362
; %bb.359:                              ;   in Loop: Header=BB2_272 Depth=3
	v_and_b32_e32 v4, 0xffffffc0, v31
	v_sub_u32_e32 v4, v48, v4
	v_lshlrev_b32_e32 v5, 9, v16
	v_add3_u32 v6, v9, v4, v5
	s_trap 2
	ds_read_b64 v[4:5], v0
	v_ashrrev_i32_e32 v7, 31, v6
	v_add_co_u32_e32 v52, vcc, v6, v52
	v_addc_co_u32_e32 v53, vcc, v7, v53, vcc
	s_waitcnt lgkmcnt(0)
	v_add_co_u32_e32 v54, vcc, v4, v6
	v_addc_co_u32_e32 v55, vcc, v5, v7, vcc
	v_add_co_u32_e32 v4, vcc, 0x1c0, v50
	v_addc_co_u32_e32 v5, vcc, 0, v51, vcc
	;; [unrolled: 2-line block ×3, first 2 shown]
	s_mov_b64 s[88:89], 0
.LBB2_360:                              ;   Parent Loop BB2_47 Depth=1
                                        ;     Parent Loop BB2_269 Depth=2
                                        ;       Parent Loop BB2_272 Depth=3
                                        ; =>      This Inner Loop Header: Depth=4
	flat_load_ubyte v4, v[52:53] glc slc
	flat_load_ubyte v5, v[52:53] offset:64 glc slc
	flat_load_ubyte v6, v[52:53] offset:128 glc slc
	;; [unrolled: 1-line block ×5, first 2 shown]
	s_waitcnt vmcnt(0)
	flat_load_ubyte v34, v[52:53] offset:384 glc slc
	flat_load_ubyte v35, v[52:53] offset:448 glc slc
	flat_load_ubyte v36, v[54:55] glc slc
	flat_load_ubyte v37, v[54:55] offset:64 glc slc
	flat_load_ubyte v49, v[54:55] offset:128 glc slc
	;; [unrolled: 1-line block ×7, first 2 shown]
	v_sub_u32_e32 v18, v18, v57
	s_waitcnt vmcnt(0) lgkmcnt(0)
	v_add_u16_e32 v36, v36, v4
	v_add_co_u32_e32 v4, vcc, s65, v50
	v_add_u16_e32 v37, v37, v5
	v_addc_co_u32_e32 v5, vcc, -1, v51, vcc
	flat_store_byte v[4:5], v36 glc slc
	v_add_co_u32_e32 v4, vcc, s66, v50
	v_addc_co_u32_e32 v5, vcc, -1, v51, vcc
	flat_store_byte v[4:5], v37 glc slc
	v_add_co_u32_e32 v4, vcc, s67, v50
	v_add_u16_e32 v6, v49, v6
	v_addc_co_u32_e32 v5, vcc, -1, v51, vcc
	flat_store_byte v[4:5], v6 glc slc
	v_add_co_u32_e32 v4, vcc, s68, v50
	v_add_u16_e32 v7, v40, v7
	;; [unrolled: 4-line block ×4, first 2 shown]
	v_addc_co_u32_e32 v5, vcc, -1, v51, vcc
	flat_store_byte v[4:5], v31 glc slc
	v_add_co_u32_e32 v4, vcc, s54, v50
	v_addc_co_u32_e32 v5, vcc, -1, v51, vcc
	v_add_co_u32_e32 v52, vcc, v52, v15
	v_addc_co_u32_e32 v53, vcc, 0, v53, vcc
	v_add_co_u32_e32 v54, vcc, v54, v15
	v_add_u16_e32 v34, v43, v34
	v_addc_co_u32_e32 v55, vcc, 0, v55, vcc
	v_add_u16_e32 v35, v45, v35
	flat_store_byte v[4:5], v34 glc slc
	flat_store_byte v[50:51], v35 glc slc
	v_add_co_u32_e32 v50, vcc, v50, v15
	v_addc_co_u32_e32 v51, vcc, 0, v51, vcc
	v_cmp_gt_i32_e32 vcc, 1, v18
	s_or_b64 s[88:89], vcc, s[88:89]
	s_andn2_b64 exec, exec, s[88:89]
	s_cbranch_execnz .LBB2_360
; %bb.361:                              ;   in Loop: Header=BB2_272 Depth=3
	s_or_b64 exec, exec, s[88:89]
	buffer_load_dword v34, off, s[0:3], s33 offset:76 ; 4-byte Folded Reload
	buffer_load_dword v35, off, s[0:3], s33 offset:80 ; 4-byte Folded Reload
	;; [unrolled: 1-line block ×4, first 2 shown]
	v_mov_b32_e32 v43, 0xc8
	v_mov_b32_e32 v19, 0x90
	;; [unrolled: 1-line block ×3, first 2 shown]
	v_lshlrev_b32_e32 v49, 11, v57
.LBB2_362:                              ;   in Loop: Header=BB2_272 Depth=3
	s_or_b64 exec, exec, s[78:79]
	v_lshlrev_b32_e32 v30, 9, v30
	v_cmp_ne_u32_e32 vcc, v17, v30
	s_and_b64 exec, exec, vcc
	s_cbranch_execz .LBB2_366
; %bb.363:                              ;   in Loop: Header=BB2_272 Depth=3
	v_lshlrev_b32_e32 v4, 6, v16
	v_sub_u32_e32 v4, v48, v4
	v_lshlrev_b32_e32 v5, 6, v18
	v_sub_u32_e32 v4, v4, v5
	v_add_u32_e32 v18, v30, v4
	v_sub_u32_e32 v16, v17, v18
	v_cmp_lt_i32_e32 vcc, 0, v16
	s_and_b64 exec, exec, vcc
	s_cbranch_execz .LBB2_366
; %bb.364:                              ;   in Loop: Header=BB2_272 Depth=3
	s_trap 2
	ds_read_b128 v[4:7], v0
	v_add_u32_e32 v9, v18, v9
	v_ashrrev_i32_e32 v17, 31, v9
	s_mov_b64 s[78:79], 0
	s_waitcnt lgkmcnt(0)
	v_add_co_u32_e32 v50, vcc, v4, v9
	v_addc_co_u32_e32 v51, vcc, v5, v17, vcc
	ds_read_b64 v[4:5], v0
	v_add_co_u32_e32 v52, vcc, v6, v9
	v_addc_co_u32_e32 v53, vcc, v7, v17, vcc
	s_waitcnt lgkmcnt(0)
	v_add_co_u32_e32 v54, vcc, v4, v9
	v_addc_co_u32_e32 v55, vcc, v5, v17, vcc
.LBB2_365:                              ;   Parent Loop BB2_47 Depth=1
                                        ;     Parent Loop BB2_269 Depth=2
                                        ;       Parent Loop BB2_272 Depth=3
                                        ; =>      This Inner Loop Header: Depth=4
	flat_load_ubyte v4, v[50:51] glc slc
	flat_load_ubyte v5, v[52:53] glc slc
	v_add_co_u32_e32 v50, vcc, v50, v60
	v_addc_co_u32_e32 v51, vcc, 0, v51, vcc
	v_add_co_u32_e32 v52, vcc, v52, v60
	v_addc_co_u32_e32 v53, vcc, 0, v53, vcc
	v_sub_u32_e32 v16, v16, v60
	v_cmp_gt_i32_e32 vcc, 1, v16
	s_or_b64 s[78:79], vcc, s[78:79]
	s_waitcnt vmcnt(0) lgkmcnt(0)
	v_add_u16_e32 v4, v5, v4
	flat_store_byte v[54:55], v4 glc slc
	v_add_co_u32_e32 v54, vcc, v54, v60
	v_addc_co_u32_e32 v55, vcc, 0, v55, vcc
	s_andn2_b64 exec, exec, s[78:79]
	s_cbranch_execnz .LBB2_365
.LBB2_366:                              ;   in Loop: Header=BB2_272 Depth=3
	s_or_b64 exec, exec, s[28:29]
	v_cmp_lt_i32_e64 s[28:29], 0, v3
	s_and_saveexec_b64 s[78:79], s[10:11]
	s_cbranch_execz .LBB2_385
.LBB2_367:                              ;   in Loop: Header=BB2_272 Depth=3
	s_and_saveexec_b64 s[88:89], s[56:57]
	s_xor_b64 s[88:89], exec, s[88:89]
	s_cbranch_execz .LBB2_382
; %bb.368:                              ;   in Loop: Header=BB2_272 Depth=3
	s_and_saveexec_b64 s[90:91], s[16:17]
	s_cbranch_execz .LBB2_381
; %bb.369:                              ;   in Loop: Header=BB2_272 Depth=3
	s_mov_b64 s[94:95], exec
	v_mbcnt_lo_u32_b32 v3, s94, 0
	v_mbcnt_hi_u32_b32 v3, s95, v3
	v_cmp_eq_u32_e32 vcc, 0, v3
	s_waitcnt vmcnt(0) lgkmcnt(0)
	buffer_wbinvl1_vol
	s_and_saveexec_b64 s[92:93], vcc
	s_cbranch_execz .LBB2_371
; %bb.370:                              ;   in Loop: Header=BB2_272 Depth=3
	s_bcnt1_i32_b64 s94, s[94:95]
	v_mov_b32_e32 v3, s94
	v_mov_b32_e32 v4, v2
	ds_add_u64 v0, v[3:4]
	s_trap 2
.LBB2_371:                              ;   in Loop: Header=BB2_272 Depth=3
	s_or_b64 exec, exec, s[92:93]
	s_trap 2
	ds_read_b64 v[3:4], v0
	s_waitcnt lgkmcnt(0)
	v_add_co_u32_e32 v12, vcc, v12, v57
	v_addc_co_u32_e32 v13, vcc, 0, v13, vcc
	v_cmp_lt_u64_e32 vcc, v[3:4], v[12:13]
	s_and_saveexec_b64 s[92:93], vcc
	s_cbranch_execz .LBB2_380
; %bb.372:                              ;   in Loop: Header=BB2_272 Depth=3
	s_mov_b32 s48, 0
	s_mov_b64 s[94:95], 0
                                        ; implicit-def: $sgpr30_sgpr31
                                        ; implicit-def: $sgpr34_sgpr35
	s_branch .LBB2_374
.LBB2_373:                              ;   in Loop: Header=BB2_374 Depth=4
	s_or_b64 exec, exec, s[38:39]
	s_and_b64 vcc, exec, vcc
	s_or_b64 s[94:95], vcc, s[94:95]
	s_andn2_b64 vcc, s[30:31], exec
	s_and_b64 s[30:31], s[34:35], exec
	s_or_b64 s[30:31], vcc, s[30:31]
	s_andn2_b64 exec, exec, s[94:95]
	s_cbranch_execz .LBB2_378
.LBB2_374:                              ;   Parent Loop BB2_47 Depth=1
                                        ;     Parent Loop BB2_269 Depth=2
                                        ;       Parent Loop BB2_272 Depth=3
                                        ; =>      This Inner Loop Header: Depth=4
	s_add_i32 s48, s48, 1
	s_cmpk_lg_i32 s48, 0x2710
	s_cselect_b64 s[36:37], -1, 0
	s_and_b64 vcc, exec, s[36:37]
	s_cbranch_vccz .LBB2_376
; %bb.375:                              ;   in Loop: Header=BB2_374 Depth=4
	s_mov_b64 vcc, -1
	s_or_b64 s[34:35], s[34:35], exec
	s_and_saveexec_b64 s[38:39], s[36:37]
	s_cbranch_execz .LBB2_373
	s_branch .LBB2_377
.LBB2_376:                              ;   in Loop: Header=BB2_374 Depth=4
	s_trap 2
	ds_read_b64 v[3:4], v0
	s_andn2_b64 s[36:37], s[36:37], exec
	s_mov_b32 s48, 0
	s_waitcnt lgkmcnt(0)
	flat_load_dword v3, v[3:4] glc
	s_waitcnt vmcnt(0) lgkmcnt(0)
	buffer_wbinvl1_vol
	v_cmp_eq_u32_e32 vcc, 0, v3
	s_and_b64 vcc, vcc, exec
	s_or_b64 s[36:37], s[36:37], vcc
	s_mov_b64 vcc, -1
	s_or_b64 s[34:35], s[34:35], exec
	s_and_saveexec_b64 s[38:39], s[36:37]
	s_cbranch_execz .LBB2_373
.LBB2_377:                              ;   in Loop: Header=BB2_374 Depth=4
	s_sleep 1
	s_trap 2
	ds_read_b64 v[3:4], v0
	s_waitcnt lgkmcnt(0)
	s_andn2_b64 s[34:35], s[34:35], exec
	v_cmp_ge_u64_e32 vcc, v[3:4], v[12:13]
	s_orn2_b64 vcc, vcc, exec
	s_branch .LBB2_373
.LBB2_378:                              ;   in Loop: Header=BB2_272 Depth=3
	s_or_b64 exec, exec, s[94:95]
	s_and_saveexec_b64 s[94:95], s[30:31]
	s_xor_b64 s[94:95], exec, s[94:95]
	s_cbranch_execz .LBB2_380
; %bb.379:                              ;   in Loop: Header=BB2_272 Depth=3
	ds_write_b32 v0, v62
	s_trap 2
.LBB2_380:                              ;   in Loop: Header=BB2_272 Depth=3
	s_or_b64 exec, exec, s[92:93]
	;;#ASMSTART
	s_wakeup
	;;#ASMEND
.LBB2_381:                              ;   in Loop: Header=BB2_272 Depth=3
	s_or_b64 exec, exec, s[90:91]
.LBB2_382:                              ;   in Loop: Header=BB2_272 Depth=3
	s_andn2_saveexec_b64 s[88:89], s[88:89]
	s_cbranch_execz .LBB2_384
; %bb.383:                              ;   in Loop: Header=BB2_272 Depth=3
	s_waitcnt vmcnt(0) lgkmcnt(0)
	buffer_wbinvl1_vol
	s_barrier
.LBB2_384:                              ;   in Loop: Header=BB2_272 Depth=3
	s_or_b64 exec, exec, s[88:89]
.LBB2_385:                              ;   in Loop: Header=BB2_272 Depth=3
	s_or_b64 exec, exec, s[78:79]
	v_and_b32_e32 v3, 16, v47
	s_and_saveexec_b64 s[78:79], s[24:25]
	s_xor_b64 s[78:79], exec, s[78:79]
	s_cbranch_execz .LBB2_389
; %bb.386:                              ;   in Loop: Header=BB2_272 Depth=3
	v_and_b32_e32 v4, 16, v47
	v_cmp_ne_u32_e32 vcc, 0, v4
	v_and_b32_e32 v3, 16, v47
	s_and_b64 s[88:89], vcc, s[28:29]
	s_and_saveexec_b64 s[28:29], s[88:89]
	s_cbranch_execz .LBB2_388
; %bb.387:                              ;   in Loop: Header=BB2_272 Depth=3
	v_mov_b32_e32 v3, 1
	s_waitcnt vmcnt(0) lgkmcnt(0)
	buffer_wbinvl1_vol
.LBB2_388:                              ;   in Loop: Header=BB2_272 Depth=3
	s_or_b64 exec, exec, s[28:29]
.LBB2_389:                              ;   in Loop: Header=BB2_272 Depth=3
	s_andn2_saveexec_b64 s[28:29], s[78:79]
	s_cbranch_execz .LBB2_408
; %bb.390:                              ;   in Loop: Header=BB2_272 Depth=3
	s_and_saveexec_b64 s[78:79], s[56:57]
	s_xor_b64 s[78:79], exec, s[78:79]
	s_cbranch_execz .LBB2_405
; %bb.391:                              ;   in Loop: Header=BB2_272 Depth=3
	s_and_saveexec_b64 s[88:89], s[16:17]
	s_cbranch_execz .LBB2_404
; %bb.392:                              ;   in Loop: Header=BB2_272 Depth=3
	s_mov_b64 s[92:93], exec
	v_mbcnt_lo_u32_b32 v4, s92, 0
	v_mbcnt_hi_u32_b32 v4, s93, v4
	v_cmp_eq_u32_e32 vcc, 0, v4
	;;#ASMSTART
	s_waitcnt lgkmcnt(0) vmcnt(0)
	;;#ASMEND
	s_and_saveexec_b64 s[90:91], vcc
	s_cbranch_execz .LBB2_394
; %bb.393:                              ;   in Loop: Header=BB2_272 Depth=3
	s_bcnt1_i32_b64 s92, s[92:93]
	v_mov_b32_e32 v4, s92
	v_mov_b32_e32 v5, v2
	s_waitcnt lgkmcnt(0)
	ds_add_u64 v0, v[4:5]
	s_trap 2
.LBB2_394:                              ;   in Loop: Header=BB2_272 Depth=3
	s_or_b64 exec, exec, s[90:91]
	s_trap 2
	ds_read_b64 v[4:5], v0
	s_waitcnt lgkmcnt(0)
	v_add_co_u32_e32 v12, vcc, v12, v57
	v_addc_co_u32_e32 v13, vcc, 0, v13, vcc
	v_cmp_lt_u64_e32 vcc, v[4:5], v[12:13]
	s_and_saveexec_b64 s[90:91], vcc
	s_cbranch_execz .LBB2_403
; %bb.395:                              ;   in Loop: Header=BB2_272 Depth=3
	s_mov_b32 s38, 0
	s_mov_b64 s[92:93], 0
                                        ; implicit-def: $sgpr94_sgpr95
                                        ; implicit-def: $sgpr30_sgpr31
	s_branch .LBB2_397
.LBB2_396:                              ;   in Loop: Header=BB2_397 Depth=4
	s_or_b64 exec, exec, s[36:37]
	s_and_b64 vcc, exec, vcc
	s_or_b64 s[92:93], vcc, s[92:93]
	s_andn2_b64 s[94:95], s[94:95], exec
	s_and_b64 vcc, s[30:31], exec
	s_or_b64 s[94:95], s[94:95], vcc
	s_andn2_b64 exec, exec, s[92:93]
	s_cbranch_execz .LBB2_401
.LBB2_397:                              ;   Parent Loop BB2_47 Depth=1
                                        ;     Parent Loop BB2_269 Depth=2
                                        ;       Parent Loop BB2_272 Depth=3
                                        ; =>      This Inner Loop Header: Depth=4
	s_add_i32 s38, s38, 1
	s_cmpk_lg_i32 s38, 0x2710
	s_cselect_b64 s[34:35], -1, 0
	s_and_b64 vcc, exec, s[34:35]
	s_cbranch_vccz .LBB2_399
; %bb.398:                              ;   in Loop: Header=BB2_397 Depth=4
	s_mov_b64 vcc, -1
	s_or_b64 s[30:31], s[30:31], exec
	s_and_saveexec_b64 s[36:37], s[34:35]
	s_cbranch_execz .LBB2_396
	s_branch .LBB2_400
.LBB2_399:                              ;   in Loop: Header=BB2_397 Depth=4
	s_trap 2
	ds_read_b64 v[4:5], v0
	s_andn2_b64 s[34:35], s[34:35], exec
	s_mov_b32 s38, 0
	s_waitcnt vmcnt(0) lgkmcnt(0)
	flat_load_dword v4, v[4:5] glc
	s_waitcnt vmcnt(0) lgkmcnt(0)
	buffer_wbinvl1_vol
	v_cmp_eq_u32_e32 vcc, 0, v4
	s_and_b64 vcc, vcc, exec
	s_or_b64 s[34:35], s[34:35], vcc
	s_mov_b64 vcc, -1
	s_or_b64 s[30:31], s[30:31], exec
	s_and_saveexec_b64 s[36:37], s[34:35]
	s_cbranch_execz .LBB2_396
.LBB2_400:                              ;   in Loop: Header=BB2_397 Depth=4
	s_sleep 1
	s_trap 2
	ds_read_b64 v[4:5], v0
	s_waitcnt lgkmcnt(0)
	s_andn2_b64 s[30:31], s[30:31], exec
	v_cmp_ge_u64_e32 vcc, v[4:5], v[12:13]
	s_orn2_b64 vcc, vcc, exec
	s_branch .LBB2_396
.LBB2_401:                              ;   in Loop: Header=BB2_272 Depth=3
	s_or_b64 exec, exec, s[92:93]
	s_and_saveexec_b64 s[92:93], s[94:95]
	s_xor_b64 s[92:93], exec, s[92:93]
	s_cbranch_execz .LBB2_403
; %bb.402:                              ;   in Loop: Header=BB2_272 Depth=3
	ds_write_b32 v0, v62
	s_trap 2
.LBB2_403:                              ;   in Loop: Header=BB2_272 Depth=3
	s_or_b64 exec, exec, s[90:91]
	;;#ASMSTART
	s_wakeup
	;;#ASMEND
.LBB2_404:                              ;   in Loop: Header=BB2_272 Depth=3
	s_or_b64 exec, exec, s[88:89]
.LBB2_405:                              ;   in Loop: Header=BB2_272 Depth=3
	s_andn2_saveexec_b64 s[78:79], s[78:79]
	s_cbranch_execz .LBB2_407
; %bb.406:                              ;   in Loop: Header=BB2_272 Depth=3
	;;#ASMSTART
	s_waitcnt lgkmcnt(0) vmcnt(0)
	;;#ASMEND
	s_waitcnt vmcnt(0) lgkmcnt(0)
	s_barrier
.LBB2_407:                              ;   in Loop: Header=BB2_272 Depth=3
	s_or_b64 exec, exec, s[78:79]
.LBB2_408:                              ;   in Loop: Header=BB2_272 Depth=3
	s_or_b64 exec, exec, s[28:29]
	v_cmp_ne_u32_e32 vcc, 0, v3
	s_xor_b64 s[28:29], s[12:13], -1
	s_and_b64 s[78:79], vcc, s[28:29]
	s_and_saveexec_b64 s[28:29], s[78:79]
	s_cbranch_execz .LBB2_410
; %bb.409:                              ;   in Loop: Header=BB2_272 Depth=3
	flat_store_dword v[24:25], v62
.LBB2_410:                              ;   in Loop: Header=BB2_272 Depth=3
	s_or_b64 exec, exec, s[28:29]
	v_and_b32_e32 v3, 48, v47
	v_cmp_ne_u32_e32 vcc, 0, v3
	s_and_saveexec_b64 s[28:29], vcc
	s_cbranch_execz .LBB2_271
; %bb.411:                              ;   in Loop: Header=BB2_272 Depth=3
	v_add_co_u32_e32 v38, vcc, 2, v38
	v_addc_co_u32_e32 v39, vcc, 0, v39, vcc
	flat_store_dwordx2 v[20:21], v[38:39]
	s_branch .LBB2_271
.LBB2_412:                              ;   in Loop: Header=BB2_269 Depth=2
	s_or_b64 exec, exec, s[42:43]
.LBB2_413:                              ;   in Loop: Header=BB2_269 Depth=2
	s_or_b64 exec, exec, s[40:41]
	v_cmp_gt_i32_e32 vcc, 2, v3
	s_and_saveexec_b64 s[40:41], vcc
	s_cbranch_execz .LBB2_268
; %bb.414:                              ;   in Loop: Header=BB2_269 Depth=2
	v_cmp_eq_u32_e64 s[76:77], 0, v3
	s_mov_b64 s[42:43], 0
	s_branch .LBB2_416
.LBB2_415:                              ;   in Loop: Header=BB2_416 Depth=3
	s_or_b64 exec, exec, s[28:29]
	v_add_u32_e32 v44, v8, v44
	s_mov_b64 s[76:77], 0
	s_andn2_b64 exec, exec, s[42:43]
	s_cbranch_execz .LBB2_267
.LBB2_416:                              ;   Parent Loop BB2_47 Depth=1
                                        ;     Parent Loop BB2_269 Depth=2
                                        ; =>    This Loop Header: Depth=3
                                        ;         Child Loop BB2_422 Depth 4
                                        ;         Child Loop BB2_450 Depth 4
                                        ;         Child Loop BB2_469 Depth 4
	v_sub_u32_e32 v3, v1, v44
	v_min_i32_e32 v8, v8, v3
	v_and_b32_e32 v3, 12, v47
	v_cmp_ne_u32_e32 vcc, 0, v3
	s_and_saveexec_b64 s[78:79], vcc
	s_cbranch_execz .LBB2_442
; %bb.417:                              ;   in Loop: Header=BB2_416 Depth=3
	v_and_b32_e32 v3, 8, v47
	s_waitcnt vmcnt(0) lgkmcnt(0)
	v_add_co_u32_e32 v4, vcc, v26, v3
	v_addc_co_u32_e32 v5, vcc, 0, v27, vcc
	v_add_co_u32_e32 v10, vcc, 2, v38
	v_addc_co_u32_e32 v11, vcc, 0, v39, vcc
	v_cmp_lt_u64_e32 vcc, v[4:5], v[10:11]
	s_and_saveexec_b64 s[88:89], vcc
	s_cbranch_execz .LBB2_429
; %bb.418:                              ;   in Loop: Header=BB2_416 Depth=3
	v_and_b32_e32 v4, 64, v47
	s_mov_b32 s97, 0
	v_cmp_eq_u32_e32 vcc, 0, v4
	s_mov_b64 s[90:91], 0
                                        ; implicit-def: $sgpr92_sgpr93
                                        ; implicit-def: $sgpr94_sgpr95
                                        ; implicit-def: $sgpr30_sgpr31
	s_branch .LBB2_422
.LBB2_419:                              ;   in Loop: Header=BB2_422 Depth=4
	s_waitcnt vmcnt(0) lgkmcnt(0)
	v_add_co_u32_e64 v4, s[28:29], v26, v3
	v_addc_co_u32_e64 v5, s[28:29], 0, v27, s[28:29]
	v_cmp_ge_u64_e64 s[28:29], v[4:5], v[10:11]
	s_or_b64 s[38:39], s[38:39], exec
	s_orn2_b64 s[36:37], s[28:29], exec
.LBB2_420:                              ;   in Loop: Header=BB2_422 Depth=4
	s_or_b64 exec, exec, s[50:51]
	s_andn2_b64 s[28:29], s[30:31], exec
	s_and_b64 s[30:31], s[38:39], exec
	s_or_b64 s[30:31], s[28:29], s[30:31]
	s_andn2_b64 s[28:29], s[94:95], exec
	s_and_b64 s[94:95], s[36:37], exec
	s_or_b64 s[94:95], s[28:29], s[94:95]
.LBB2_421:                              ;   in Loop: Header=BB2_422 Depth=4
	s_or_b64 exec, exec, s[34:35]
	s_and_b64 s[28:29], exec, s[94:95]
	s_or_b64 s[90:91], s[28:29], s[90:91]
	s_andn2_b64 s[28:29], s[92:93], exec
	s_and_b64 s[92:93], s[30:31], exec
	s_or_b64 s[92:93], s[28:29], s[92:93]
	s_andn2_b64 exec, exec, s[90:91]
	s_cbranch_execz .LBB2_426
.LBB2_422:                              ;   Parent Loop BB2_47 Depth=1
                                        ;     Parent Loop BB2_269 Depth=2
                                        ;       Parent Loop BB2_416 Depth=3
                                        ; =>      This Inner Loop Header: Depth=4
	s_sleep 1
	s_waitcnt vmcnt(0) lgkmcnt(0)
	flat_load_dwordx2 v[26:27], v[20:21] glc
	s_or_b64 s[30:31], s[30:31], exec
	s_or_b64 s[94:95], s[94:95], exec
                                        ; implicit-def: $vgpr9
	s_and_saveexec_b64 s[34:35], vcc
	s_cbranch_execz .LBB2_421
; %bb.423:                              ;   in Loop: Header=BB2_422 Depth=4
	s_cmpk_lt_i32 s97, 0x270f
	s_cselect_b64 s[48:49], -1, 0
	s_cmpk_gt_i32 s97, 0x270e
	s_mov_b64 s[36:37], -1
	s_cbranch_scc0 .LBB2_425
; %bb.424:                              ;   in Loop: Header=BB2_422 Depth=4
	s_trap 2
	ds_read_b64 v[4:5], v0
	s_andn2_b64 s[48:49], s[48:49], exec
	s_mov_b32 s97, 0
	s_mov_b64 s[38:39], 0
	s_waitcnt vmcnt(0) lgkmcnt(0)
	flat_load_dword v9, v[4:5] glc
	s_waitcnt vmcnt(0) lgkmcnt(0)
	buffer_wbinvl1_vol
	v_cmp_eq_u32_e64 s[28:29], 0, v9
	s_and_b64 s[28:29], s[28:29], exec
	s_or_b64 s[48:49], s[48:49], s[28:29]
	s_and_saveexec_b64 s[50:51], s[48:49]
	s_cbranch_execz .LBB2_420
	s_branch .LBB2_419
.LBB2_425:                              ;   in Loop: Header=BB2_422 Depth=4
	s_add_i32 s97, s97, 1
	s_mov_b64 s[38:39], -1
                                        ; implicit-def: $vgpr9
	s_and_saveexec_b64 s[50:51], s[48:49]
	s_cbranch_execz .LBB2_420
	s_branch .LBB2_419
.LBB2_426:                              ;   in Loop: Header=BB2_416 Depth=3
	s_or_b64 exec, exec, s[90:91]
	s_xor_b64 s[28:29], s[92:93], -1
	s_and_saveexec_b64 s[90:91], s[28:29]
	s_xor_b64 s[28:29], exec, s[90:91]
	s_cbranch_execz .LBB2_428
; %bb.427:                              ;   in Loop: Header=BB2_416 Depth=3
	v_or_b32_e32 v47, 64, v47
	s_waitcnt lgkmcnt(0)
	ds_write_b32 v0, v9
	s_trap 2
.LBB2_428:                              ;   in Loop: Header=BB2_416 Depth=3
	s_or_b64 exec, exec, s[28:29]
.LBB2_429:                              ;   in Loop: Header=BB2_416 Depth=3
	s_or_b64 exec, exec, s[88:89]
	v_and_b32_e32 v4, 0x108, v47
	v_cmp_ne_u32_e32 vcc, s55, v4
	;;#ASMSTART
	s_wakeup
	;;#ASMEND
                                        ; implicit-def: $vgpr50_vgpr51
	s_and_saveexec_b64 s[28:29], vcc
	s_xor_b64 s[28:29], exec, s[28:29]
; %bb.430:                              ;   in Loop: Header=BB2_416 Depth=3
	v_and_b32_e32 v50, 7, v38
	v_mov_b32_e32 v51, v2
                                        ; implicit-def: $vgpr38_vgpr39
; %bb.431:                              ;   in Loop: Header=BB2_416 Depth=3
	s_andn2_saveexec_b64 s[28:29], s[28:29]
	s_cbranch_execz .LBB2_433
; %bb.432:                              ;   in Loop: Header=BB2_416 Depth=3
	v_and_b32_e32 v50, 7, v38
	v_mad_u64_u32 v[4:5], s[88:89], v50, 24, v[34:35]
	v_mov_b32_e32 v51, v2
	v_ashrrev_i32_e32 v9, 31, v8
	flat_store_dwordx2 v[4:5], v[8:9] offset:8
.LBB2_433:                              ;   in Loop: Header=BB2_416 Depth=3
	s_or_b64 exec, exec, s[28:29]
	v_and_b32_e32 v4, 0x100, v47
	v_cmp_ne_u32_e32 vcc, 0, v4
	s_mov_b64 s[28:29], -1
                                        ; implicit-def: $vgpr38_vgpr39
	s_and_saveexec_b64 s[88:89], vcc
	s_cbranch_execz .LBB2_437
; %bb.434:                              ;   in Loop: Header=BB2_416 Depth=3
	v_mad_u64_u32 v[52:53], s[28:29], v50, 24, v[34:35]
                                        ; implicit-def: $vgpr38_vgpr39
	v_mov_b32_e32 v4, v53
	v_mad_u64_u32 v[4:5], s[28:29], v51, 24, v[4:5]
	v_mov_b32_e32 v53, v4
	flat_load_dword v4, v[52:53]
	s_waitcnt vmcnt(0) lgkmcnt(0)
	v_cmp_ne_u32_e32 vcc, 1, v4
	v_cmp_eq_u32_e64 s[28:29], 1, v4
	s_and_saveexec_b64 s[90:91], s[28:29]
	s_cbranch_execz .LBB2_436
; %bb.435:                              ;   in Loop: Header=BB2_416 Depth=3
	flat_load_dword v38, v[52:53] offset:4 glc
	s_waitcnt vmcnt(0) lgkmcnt(0)
	v_ashrrev_i32_e32 v39, 31, v38
.LBB2_436:                              ;   in Loop: Header=BB2_416 Depth=3
	s_or_b64 exec, exec, s[90:91]
	s_orn2_b64 s[28:29], vcc, exec
.LBB2_437:                              ;   in Loop: Header=BB2_416 Depth=3
	s_or_b64 exec, exec, s[88:89]
	s_and_saveexec_b64 s[88:89], s[28:29]
	s_cbranch_execz .LBB2_439
; %bb.438:                              ;   in Loop: Header=BB2_416 Depth=3
	v_mul_lo_u32 v4, v51, v56
	v_mul_lo_u32 v5, v50, v59
	v_mad_u64_u32 v[38:39], s[28:29], v50, v56, 0
	v_add3_u32 v39, v39, v5, v4
.LBB2_439:                              ;   in Loop: Header=BB2_416 Depth=3
	s_or_b64 exec, exec, s[88:89]
	v_cmp_eq_u32_e32 vcc, 0, v3
	v_cndmask_b32_e32 v5, v43, v19, vcc
	v_add_co_u32_e32 v3, vcc, v22, v38
	v_addc_co_u32_e32 v4, vcc, v23, v39, vcc
	v_add_u32_e32 v5, v0, v5
	ds_write_b64 v5, v[3:4] offset:584
	v_and_b32_e32 v3, 0x2000, v47
	v_cmp_ne_u32_e32 vcc, 0, v3
	s_and_saveexec_b64 s[28:29], vcc
	s_cbranch_execz .LBB2_441
; %bb.440:                              ;   in Loop: Header=BB2_416 Depth=3
	ds_read_b64 v[3:4], v0 offset:872
	s_waitcnt lgkmcnt(0)
	v_add_co_u32_e32 v3, vcc, 1, v3
	v_addc_co_u32_e32 v4, vcc, 0, v4, vcc
	ds_write_b64 v0, v[3:4] offset:872
.LBB2_441:                              ;   in Loop: Header=BB2_416 Depth=3
	s_or_b64 exec, exec, s[28:29]
	v_mov_b32_e32 v39, v11
	v_mov_b32_e32 v38, v10
.LBB2_442:                              ;   in Loop: Header=BB2_416 Depth=3
	s_or_b64 exec, exec, s[78:79]
	s_xor_b64 s[28:29], s[76:77], -1
	s_and_b64 s[28:29], exec, s[28:29]
	s_or_b64 s[42:43], s[28:29], s[42:43]
	s_and_saveexec_b64 s[28:29], s[10:11]
	s_cbranch_execz .LBB2_461
; %bb.443:                              ;   in Loop: Header=BB2_416 Depth=3
	s_and_saveexec_b64 s[76:77], s[56:57]
	s_xor_b64 s[76:77], exec, s[76:77]
	s_cbranch_execz .LBB2_458
; %bb.444:                              ;   in Loop: Header=BB2_416 Depth=3
	s_and_saveexec_b64 s[78:79], s[16:17]
	s_cbranch_execz .LBB2_457
; %bb.445:                              ;   in Loop: Header=BB2_416 Depth=3
	s_mov_b64 s[90:91], exec
	v_mbcnt_lo_u32_b32 v3, s90, 0
	v_mbcnt_hi_u32_b32 v3, s91, v3
	v_cmp_eq_u32_e32 vcc, 0, v3
	s_waitcnt vmcnt(0) lgkmcnt(0)
	buffer_wbinvl1_vol
	s_and_saveexec_b64 s[88:89], vcc
	s_cbranch_execz .LBB2_447
; %bb.446:                              ;   in Loop: Header=BB2_416 Depth=3
	s_bcnt1_i32_b64 s90, s[90:91]
	v_mov_b32_e32 v3, s90
	v_mov_b32_e32 v4, v2
	ds_add_u64 v0, v[3:4]
	s_trap 2
.LBB2_447:                              ;   in Loop: Header=BB2_416 Depth=3
	s_or_b64 exec, exec, s[88:89]
	s_trap 2
	ds_read_b64 v[3:4], v0
	s_waitcnt lgkmcnt(0)
	v_add_co_u32_e32 v12, vcc, v12, v57
	v_addc_co_u32_e32 v13, vcc, 0, v13, vcc
	v_cmp_lt_u64_e32 vcc, v[3:4], v[12:13]
	s_and_saveexec_b64 s[88:89], vcc
	s_cbranch_execz .LBB2_456
; %bb.448:                              ;   in Loop: Header=BB2_416 Depth=3
	s_mov_b32 s36, 0
	s_mov_b64 s[90:91], 0
                                        ; implicit-def: $sgpr92_sgpr93
                                        ; implicit-def: $sgpr94_sgpr95
	s_branch .LBB2_450
.LBB2_449:                              ;   in Loop: Header=BB2_450 Depth=4
	s_or_b64 exec, exec, s[34:35]
	s_and_b64 vcc, exec, vcc
	s_or_b64 s[90:91], vcc, s[90:91]
	s_andn2_b64 s[92:93], s[92:93], exec
	s_and_b64 vcc, s[94:95], exec
	s_or_b64 s[92:93], s[92:93], vcc
	s_andn2_b64 exec, exec, s[90:91]
	s_cbranch_execz .LBB2_454
.LBB2_450:                              ;   Parent Loop BB2_47 Depth=1
                                        ;     Parent Loop BB2_269 Depth=2
                                        ;       Parent Loop BB2_416 Depth=3
                                        ; =>      This Inner Loop Header: Depth=4
	s_add_i32 s36, s36, 1
	s_cmpk_lg_i32 s36, 0x2710
	s_cselect_b64 s[30:31], -1, 0
	s_and_b64 vcc, exec, s[30:31]
	s_cbranch_vccz .LBB2_452
; %bb.451:                              ;   in Loop: Header=BB2_450 Depth=4
	s_mov_b64 vcc, -1
	s_or_b64 s[94:95], s[94:95], exec
	s_and_saveexec_b64 s[34:35], s[30:31]
	s_cbranch_execz .LBB2_449
	s_branch .LBB2_453
.LBB2_452:                              ;   in Loop: Header=BB2_450 Depth=4
	s_trap 2
	ds_read_b64 v[3:4], v0
	s_andn2_b64 s[30:31], s[30:31], exec
	s_mov_b32 s36, 0
	s_waitcnt lgkmcnt(0)
	flat_load_dword v3, v[3:4] glc
	s_waitcnt vmcnt(0) lgkmcnt(0)
	buffer_wbinvl1_vol
	v_cmp_eq_u32_e32 vcc, 0, v3
	s_and_b64 vcc, vcc, exec
	s_or_b64 s[30:31], s[30:31], vcc
	s_mov_b64 vcc, -1
	s_or_b64 s[94:95], s[94:95], exec
	s_and_saveexec_b64 s[34:35], s[30:31]
	s_cbranch_execz .LBB2_449
.LBB2_453:                              ;   in Loop: Header=BB2_450 Depth=4
	s_sleep 1
	s_trap 2
	ds_read_b64 v[3:4], v0
	s_waitcnt lgkmcnt(0)
	s_andn2_b64 s[94:95], s[94:95], exec
	v_cmp_ge_u64_e32 vcc, v[3:4], v[12:13]
	s_orn2_b64 vcc, vcc, exec
	s_branch .LBB2_449
.LBB2_454:                              ;   in Loop: Header=BB2_416 Depth=3
	s_or_b64 exec, exec, s[90:91]
	s_and_saveexec_b64 s[90:91], s[92:93]
	s_xor_b64 s[90:91], exec, s[90:91]
	s_cbranch_execz .LBB2_456
; %bb.455:                              ;   in Loop: Header=BB2_416 Depth=3
	ds_write_b32 v0, v62
	s_trap 2
.LBB2_456:                              ;   in Loop: Header=BB2_416 Depth=3
	s_or_b64 exec, exec, s[88:89]
	;;#ASMSTART
	s_wakeup
	;;#ASMEND
.LBB2_457:                              ;   in Loop: Header=BB2_416 Depth=3
	s_or_b64 exec, exec, s[78:79]
.LBB2_458:                              ;   in Loop: Header=BB2_416 Depth=3
	s_andn2_saveexec_b64 s[76:77], s[76:77]
	s_cbranch_execz .LBB2_460
; %bb.459:                              ;   in Loop: Header=BB2_416 Depth=3
	s_waitcnt vmcnt(0) lgkmcnt(0)
	buffer_wbinvl1_vol
	s_barrier
.LBB2_460:                              ;   in Loop: Header=BB2_416 Depth=3
	s_or_b64 exec, exec, s[76:77]
.LBB2_461:                              ;   in Loop: Header=BB2_416 Depth=3
	s_or_b64 exec, exec, s[28:29]
                                        ; implicit-def: $vgpr3
	s_and_saveexec_b64 s[28:29], s[62:63]
	s_xor_b64 s[28:29], exec, s[28:29]
	s_cbranch_execz .LBB2_473
; %bb.462:                              ;   in Loop: Header=BB2_416 Depth=3
	s_and_saveexec_b64 s[76:77], s[56:57]
	s_xor_b64 s[76:77], exec, s[76:77]
	s_cbranch_execz .LBB2_478
; %bb.463:                              ;   in Loop: Header=BB2_416 Depth=3
	s_and_saveexec_b64 s[78:79], s[16:17]
	s_cbranch_execz .LBB2_477
; %bb.464:                              ;   in Loop: Header=BB2_416 Depth=3
	s_mov_b64 s[90:91], exec
	v_mbcnt_lo_u32_b32 v3, s90, 0
	v_mbcnt_hi_u32_b32 v3, s91, v3
	v_cmp_eq_u32_e32 vcc, 0, v3
	;;#ASMSTART
	s_waitcnt lgkmcnt(0) vmcnt(0)
	;;#ASMEND
	s_and_saveexec_b64 s[88:89], vcc
	s_cbranch_execz .LBB2_466
; %bb.465:                              ;   in Loop: Header=BB2_416 Depth=3
	s_bcnt1_i32_b64 s90, s[90:91]
	v_mov_b32_e32 v3, s90
	v_mov_b32_e32 v4, v2
	s_waitcnt lgkmcnt(0)
	ds_add_u64 v0, v[3:4]
	s_trap 2
.LBB2_466:                              ;   in Loop: Header=BB2_416 Depth=3
	s_or_b64 exec, exec, s[88:89]
	s_trap 2
	ds_read_b64 v[3:4], v0
	s_waitcnt lgkmcnt(0)
	v_add_co_u32_e32 v12, vcc, v12, v57
	v_addc_co_u32_e32 v13, vcc, 0, v13, vcc
	v_cmp_lt_u64_e32 vcc, v[3:4], v[12:13]
	s_and_saveexec_b64 s[88:89], vcc
	s_cbranch_execz .LBB2_476
; %bb.467:                              ;   in Loop: Header=BB2_416 Depth=3
	s_mov_b32 s36, 0
	s_mov_b64 s[90:91], 0
                                        ; implicit-def: $sgpr92_sgpr93
                                        ; implicit-def: $sgpr94_sgpr95
	s_branch .LBB2_469
.LBB2_468:                              ;   in Loop: Header=BB2_469 Depth=4
	s_or_b64 exec, exec, s[34:35]
	s_and_b64 vcc, exec, vcc
	s_or_b64 s[90:91], vcc, s[90:91]
	s_andn2_b64 s[92:93], s[92:93], exec
	s_and_b64 vcc, s[94:95], exec
	s_or_b64 s[92:93], s[92:93], vcc
	s_andn2_b64 exec, exec, s[90:91]
	s_cbranch_execz .LBB2_474
.LBB2_469:                              ;   Parent Loop BB2_47 Depth=1
                                        ;     Parent Loop BB2_269 Depth=2
                                        ;       Parent Loop BB2_416 Depth=3
                                        ; =>      This Inner Loop Header: Depth=4
	s_add_i32 s36, s36, 1
	s_cmpk_lg_i32 s36, 0x2710
	s_cselect_b64 s[30:31], -1, 0
	s_and_b64 vcc, exec, s[30:31]
	s_cbranch_vccz .LBB2_471
; %bb.470:                              ;   in Loop: Header=BB2_469 Depth=4
	s_mov_b64 vcc, -1
	s_or_b64 s[94:95], s[94:95], exec
	s_and_saveexec_b64 s[34:35], s[30:31]
	s_cbranch_execz .LBB2_468
	s_branch .LBB2_472
.LBB2_471:                              ;   in Loop: Header=BB2_469 Depth=4
	s_trap 2
	ds_read_b64 v[3:4], v0
	s_andn2_b64 s[30:31], s[30:31], exec
	s_mov_b32 s36, 0
	s_waitcnt vmcnt(0) lgkmcnt(0)
	flat_load_dword v3, v[3:4] glc
	s_waitcnt vmcnt(0) lgkmcnt(0)
	buffer_wbinvl1_vol
	v_cmp_eq_u32_e32 vcc, 0, v3
	s_and_b64 vcc, vcc, exec
	s_or_b64 s[30:31], s[30:31], vcc
	s_mov_b64 vcc, -1
	s_or_b64 s[94:95], s[94:95], exec
	s_and_saveexec_b64 s[34:35], s[30:31]
	s_cbranch_execz .LBB2_468
.LBB2_472:                              ;   in Loop: Header=BB2_469 Depth=4
	s_sleep 1
	s_trap 2
	ds_read_b64 v[3:4], v0
	s_waitcnt lgkmcnt(0)
	s_andn2_b64 s[94:95], s[94:95], exec
	v_cmp_ge_u64_e32 vcc, v[3:4], v[12:13]
	s_orn2_b64 vcc, vcc, exec
	s_branch .LBB2_468
.LBB2_473:                              ;   in Loop: Header=BB2_416 Depth=3
	s_andn2_saveexec_b64 s[28:29], s[28:29]
	s_cbranch_execnz .LBB2_481
	s_branch .LBB2_484
.LBB2_474:                              ;   in Loop: Header=BB2_416 Depth=3
	s_or_b64 exec, exec, s[90:91]
	s_and_saveexec_b64 s[90:91], s[92:93]
	s_xor_b64 s[90:91], exec, s[90:91]
	s_cbranch_execz .LBB2_476
; %bb.475:                              ;   in Loop: Header=BB2_416 Depth=3
	ds_write_b32 v0, v62
	s_trap 2
.LBB2_476:                              ;   in Loop: Header=BB2_416 Depth=3
	s_or_b64 exec, exec, s[88:89]
	;;#ASMSTART
	s_wakeup
	;;#ASMEND
.LBB2_477:                              ;   in Loop: Header=BB2_416 Depth=3
	s_or_b64 exec, exec, s[78:79]
.LBB2_478:                              ;   in Loop: Header=BB2_416 Depth=3
	s_andn2_saveexec_b64 s[76:77], s[76:77]
	s_cbranch_execz .LBB2_480
; %bb.479:                              ;   in Loop: Header=BB2_416 Depth=3
	;;#ASMSTART
	s_waitcnt lgkmcnt(0) vmcnt(0)
	;;#ASMEND
	s_waitcnt vmcnt(0) lgkmcnt(0)
	s_barrier
.LBB2_480:                              ;   in Loop: Header=BB2_416 Depth=3
	s_or_b64 exec, exec, s[76:77]
	v_and_b32_e32 v3, 16, v47
	s_andn2_saveexec_b64 s[28:29], s[28:29]
	s_cbranch_execz .LBB2_484
.LBB2_481:                              ;   in Loop: Header=BB2_416 Depth=3
	s_trap 2
	ds_read_b32 v3, v0
	v_cmp_lt_i32_e32 vcc, 0, v8
	v_and_b32_e32 v4, 16, v47
	s_waitcnt lgkmcnt(0)
	v_readfirstlane_b32 s76, v3
	s_cmp_eq_u32 s76, 0
	s_cselect_b64 s[76:77], -1, 0
	s_and_b64 s[76:77], vcc, s[76:77]
	v_cmp_ne_u32_e32 vcc, 0, v4
	v_and_b32_e32 v3, 16, v47
	s_and_b64 s[78:79], vcc, s[76:77]
	s_and_saveexec_b64 s[76:77], s[78:79]
	s_cbranch_execz .LBB2_483
; %bb.482:                              ;   in Loop: Header=BB2_416 Depth=3
	v_mov_b32_e32 v3, 1
	s_waitcnt vmcnt(0)
	buffer_wbinvl1_vol
.LBB2_483:                              ;   in Loop: Header=BB2_416 Depth=3
	s_or_b64 exec, exec, s[76:77]
.LBB2_484:                              ;   in Loop: Header=BB2_416 Depth=3
	s_or_b64 exec, exec, s[28:29]
	v_cmp_ne_u32_e32 vcc, 0, v3
	s_xor_b64 s[28:29], s[12:13], -1
	s_and_b64 s[76:77], vcc, s[28:29]
	s_and_saveexec_b64 s[28:29], s[76:77]
	s_cbranch_execz .LBB2_486
; %bb.485:                              ;   in Loop: Header=BB2_416 Depth=3
	flat_store_dword v[24:25], v62
.LBB2_486:                              ;   in Loop: Header=BB2_416 Depth=3
	s_or_b64 exec, exec, s[28:29]
	v_and_b32_e32 v3, 48, v47
	v_cmp_ne_u32_e32 vcc, 0, v3
	s_and_saveexec_b64 s[28:29], vcc
	s_cbranch_execz .LBB2_415
; %bb.487:                              ;   in Loop: Header=BB2_416 Depth=3
	v_add_co_u32_e32 v38, vcc, 2, v38
	v_addc_co_u32_e32 v39, vcc, 0, v39, vcc
	flat_store_dwordx2 v[20:21], v[38:39]
	s_branch .LBB2_415
.LBB2_488:                              ;   in Loop: Header=BB2_47 Depth=1
	buffer_load_dword v5, off, s[0:3], s33 offset:108 ; 4-byte Folded Reload
	buffer_load_dword v6, off, s[0:3], s33 offset:112 ; 4-byte Folded Reload
	v_mov_b32_e32 v55, 0
	s_waitcnt vmcnt(0)
	v_mul_lo_u32 v3, v5, s53
	v_mul_lo_u32 v1, v6, s52
	v_mad_u64_u32 v[8:9], s[28:29], v5, s52, 0
	v_add3_u32 v9, v9, v3, v1
	buffer_load_dword v3, off, s[0:3], s33 offset:100 ; 4-byte Folded Reload
	buffer_load_dword v4, off, s[0:3], s33 offset:104 ; 4-byte Folded Reload
	v_mov_b32_e32 v1, 0
	s_waitcnt vmcnt(0)
	v_sub_co_u32_e32 v3, vcc, v3, v8
	v_subb_co_u32_e32 v4, vcc, v4, v9, vcc
	v_cmp_lt_i64_e32 vcc, v[5:6], v[3:4]
	v_cndmask_b32_e32 v3, v3, v5, vcc
	v_max_i32_e32 v54, 0, v3
	v_add_u32_e32 v4, 31, v54
	v_lshrrev_b32_e32 v4, 1, v4
	v_and_b32_e32 v4, 0x3ffffff0, v4
	v_cmp_lt_i32_e32 vcc, 0, v3
	v_max_i32_e32 v50, s85, v4
	s_and_b64 s[28:29], s[72:73], vcc
	s_and_saveexec_b64 s[76:77], s[28:29]
	s_cbranch_execz .LBB2_671
; %bb.489:                              ;   in Loop: Header=BB2_47 Depth=1
	buffer_load_dword v1, off, s[0:3], s33 offset:68 ; 4-byte Folded Reload
	s_mov_b32 s75, 1
	s_mov_b64 s[88:89], -1
	v_mov_b32_e32 v55, 0
	s_mov_b64 s[78:79], 0
	s_waitcnt vmcnt(0)
	v_add_co_u32_e32 v53, vcc, v8, v1
	buffer_load_dword v1, off, s[0:3], s33 offset:72 ; 4-byte Folded Reload
	s_waitcnt vmcnt(0)
	v_addc_co_u32_e32 v45, vcc, v9, v1, vcc
	buffer_store_dword v54, off, s[0:3], s33 offset:168 ; 4-byte Folded Spill
	buffer_store_dword v53, off, s[0:3], s33 offset:156 ; 4-byte Folded Spill
	;; [unrolled: 1-line block ×3, first 2 shown]
	s_branch .LBB2_491
.LBB2_490:                              ;   in Loop: Header=BB2_491 Depth=2
	s_or_b64 exec, exec, s[28:29]
	v_add_u32_e32 v55, v50, v55
	v_cmp_ge_i32_e32 vcc, v55, v54
	s_xor_b64 s[28:29], s[88:89], -1
	s_or_b64 s[28:29], s[28:29], vcc
	s_and_b64 s[28:29], exec, s[28:29]
	s_or_b64 s[78:79], s[28:29], s[78:79]
	s_mov_b64 s[88:89], 0
	v_mov_b32_e32 v1, s75
	s_mov_b32 s75, 2
	s_andn2_b64 exec, exec, s[78:79]
	s_cbranch_execz .LBB2_746
.LBB2_491:                              ;   Parent Loop BB2_47 Depth=1
                                        ; =>  This Loop Header: Depth=2
                                        ;       Child Loop BB2_499 Depth 3
                                        ;       Child Loop BB2_527 Depth 3
	;; [unrolled: 1-line block ×4, first 2 shown]
                                        ;         Child Loop BB2_572 Depth 4
                                        ;       Child Loop BB2_578 Depth 3
                                        ;         Child Loop BB2_579 Depth 4
                                        ;       Child Loop BB2_587 Depth 3
                                        ;       Child Loop BB2_592 Depth 3
                                        ;         Child Loop BB2_593 Depth 4
                                        ;       Child Loop BB2_605 Depth 3
                                        ;       Child Loop BB2_610 Depth 3
	;; [unrolled: 1-line block ×6, first 2 shown]
	s_and_saveexec_b64 s[28:29], s[4:5]
	s_cbranch_execz .LBB2_493
; %bb.492:                              ;   in Loop: Header=BB2_491 Depth=2
	s_trap 2
	ds_read2_b64 v[8:11], v0 offset1:1
	v_ashrrev_i32_e32 v5, 31, v55
	s_waitcnt lgkmcnt(0)
	v_add_co_u32_e32 v1, vcc, v8, v53
	v_addc_co_u32_e32 v4, vcc, v9, v45, vcc
	v_add_co_u32_e32 v3, vcc, v1, v55
	v_addc_co_u32_e32 v4, vcc, v4, v5, vcc
	v_add_co_u32_e32 v1, vcc, v10, v53
	ds_write_b64 v0, v[3:4]
	v_addc_co_u32_e32 v4, vcc, v11, v45, vcc
	v_add_co_u32_e32 v3, vcc, v1, v55
	v_addc_co_u32_e32 v4, vcc, v4, v5, vcc
	ds_write_b64 v0, v[3:4]
	ds_read_b64 v[3:4], v0
	s_waitcnt lgkmcnt(0)
	v_add_co_u32_e32 v1, vcc, v3, v53
	v_addc_co_u32_e32 v6, vcc, v4, v45, vcc
	v_add_co_u32_e32 v1, vcc, v1, v55
	v_addc_co_u32_e32 v5, vcc, v6, v5, vcc
	v_cmp_ne_u64_e32 vcc, 0, v[3:4]
	v_cndmask_b32_e32 v4, 0, v5, vcc
	v_cndmask_b32_e32 v3, 0, v1, vcc
	ds_write_b64 v0, v[3:4]
.LBB2_493:                              ;   in Loop: Header=BB2_491 Depth=2
	s_or_b64 exec, exec, s[28:29]
	v_sub_u32_e32 v1, v54, v55
	v_min_i32_e32 v50, v50, v1
	v_and_b32_e32 v1, 12, v47
	v_cmp_ne_u32_e32 vcc, 0, v1
	s_and_saveexec_b64 s[40:41], vcc
	s_cbranch_execz .LBB2_519
; %bb.494:                              ;   in Loop: Header=BB2_491 Depth=2
	v_and_b32_e32 v1, 8, v47
	s_waitcnt vmcnt(0) lgkmcnt(0)
	v_add_co_u32_e32 v3, vcc, v26, v1
	v_addc_co_u32_e32 v4, vcc, 0, v27, vcc
	v_add_co_u32_e32 v8, vcc, 2, v38
	v_addc_co_u32_e32 v9, vcc, 0, v39, vcc
	v_cmp_lt_u64_e32 vcc, v[3:4], v[8:9]
	s_and_saveexec_b64 s[42:43], vcc
	s_cbranch_execz .LBB2_506
; %bb.495:                              ;   in Loop: Header=BB2_491 Depth=2
	v_and_b32_e32 v3, 64, v47
	s_mov_b32 s97, 0
	v_cmp_eq_u32_e32 vcc, 0, v3
	s_mov_b64 s[90:91], 0
                                        ; implicit-def: $sgpr92_sgpr93
                                        ; implicit-def: $sgpr94_sgpr95
                                        ; implicit-def: $sgpr30_sgpr31
	s_branch .LBB2_499
.LBB2_496:                              ;   in Loop: Header=BB2_499 Depth=3
	s_waitcnt vmcnt(0) lgkmcnt(0)
	v_add_co_u32_e64 v4, s[28:29], v26, v1
	v_addc_co_u32_e64 v5, s[28:29], 0, v27, s[28:29]
	v_cmp_ge_u64_e64 s[28:29], v[4:5], v[8:9]
	s_or_b64 s[38:39], s[38:39], exec
	s_orn2_b64 s[36:37], s[28:29], exec
.LBB2_497:                              ;   in Loop: Header=BB2_499 Depth=3
	s_or_b64 exec, exec, s[50:51]
	s_andn2_b64 s[28:29], s[30:31], exec
	s_and_b64 s[30:31], s[38:39], exec
	s_or_b64 s[30:31], s[28:29], s[30:31]
	s_andn2_b64 s[28:29], s[94:95], exec
	s_and_b64 s[94:95], s[36:37], exec
	s_or_b64 s[94:95], s[28:29], s[94:95]
.LBB2_498:                              ;   in Loop: Header=BB2_499 Depth=3
	s_or_b64 exec, exec, s[34:35]
	s_and_b64 s[28:29], exec, s[94:95]
	s_or_b64 s[90:91], s[28:29], s[90:91]
	s_andn2_b64 s[28:29], s[92:93], exec
	s_and_b64 s[92:93], s[30:31], exec
	s_or_b64 s[92:93], s[28:29], s[92:93]
	s_andn2_b64 exec, exec, s[90:91]
	s_cbranch_execz .LBB2_503
.LBB2_499:                              ;   Parent Loop BB2_47 Depth=1
                                        ;     Parent Loop BB2_491 Depth=2
                                        ; =>    This Inner Loop Header: Depth=3
	s_sleep 1
	s_waitcnt vmcnt(0) lgkmcnt(0)
	flat_load_dwordx2 v[26:27], v[20:21] glc
	s_or_b64 s[30:31], s[30:31], exec
	s_or_b64 s[94:95], s[94:95], exec
                                        ; implicit-def: $vgpr3
	s_and_saveexec_b64 s[34:35], vcc
	s_cbranch_execz .LBB2_498
; %bb.500:                              ;   in Loop: Header=BB2_499 Depth=3
	s_cmpk_lt_i32 s97, 0x270f
	s_cselect_b64 s[48:49], -1, 0
	s_cmpk_gt_i32 s97, 0x270e
	s_mov_b64 s[36:37], -1
	s_cbranch_scc0 .LBB2_502
; %bb.501:                              ;   in Loop: Header=BB2_499 Depth=3
	s_trap 2
	ds_read_b64 v[3:4], v0
	s_andn2_b64 s[48:49], s[48:49], exec
	s_mov_b32 s97, 0
	s_mov_b64 s[38:39], 0
	s_waitcnt vmcnt(0) lgkmcnt(0)
	flat_load_dword v3, v[3:4] glc
	s_waitcnt vmcnt(0) lgkmcnt(0)
	buffer_wbinvl1_vol
	v_cmp_eq_u32_e64 s[28:29], 0, v3
	s_and_b64 s[28:29], s[28:29], exec
	s_or_b64 s[48:49], s[48:49], s[28:29]
	s_and_saveexec_b64 s[50:51], s[48:49]
	s_cbranch_execz .LBB2_497
	s_branch .LBB2_496
.LBB2_502:                              ;   in Loop: Header=BB2_499 Depth=3
	s_add_i32 s97, s97, 1
	s_mov_b64 s[38:39], -1
                                        ; implicit-def: $vgpr3
	s_and_saveexec_b64 s[50:51], s[48:49]
	s_cbranch_execz .LBB2_497
	s_branch .LBB2_496
.LBB2_503:                              ;   in Loop: Header=BB2_491 Depth=2
	s_or_b64 exec, exec, s[90:91]
	s_xor_b64 s[28:29], s[92:93], -1
	s_and_saveexec_b64 s[90:91], s[28:29]
	s_xor_b64 s[28:29], exec, s[90:91]
	s_cbranch_execz .LBB2_505
; %bb.504:                              ;   in Loop: Header=BB2_491 Depth=2
	v_or_b32_e32 v47, 64, v47
	s_waitcnt lgkmcnt(0)
	ds_write_b32 v0, v3
	s_trap 2
.LBB2_505:                              ;   in Loop: Header=BB2_491 Depth=2
	s_or_b64 exec, exec, s[28:29]
.LBB2_506:                              ;   in Loop: Header=BB2_491 Depth=2
	s_or_b64 exec, exec, s[42:43]
	v_and_b32_e32 v3, 0x108, v47
	v_cmp_ne_u32_e32 vcc, s55, v3
	;;#ASMSTART
	s_wakeup
	;;#ASMEND
                                        ; implicit-def: $vgpr10_vgpr11
	s_and_saveexec_b64 s[28:29], vcc
	s_xor_b64 s[28:29], exec, s[28:29]
; %bb.507:                              ;   in Loop: Header=BB2_491 Depth=2
	v_and_b32_e32 v10, 7, v38
	v_mov_b32_e32 v11, v2
                                        ; implicit-def: $vgpr38_vgpr39
; %bb.508:                              ;   in Loop: Header=BB2_491 Depth=2
	s_andn2_saveexec_b64 s[28:29], s[28:29]
	s_cbranch_execz .LBB2_510
; %bb.509:                              ;   in Loop: Header=BB2_491 Depth=2
	v_and_b32_e32 v10, 7, v38
	v_mad_u64_u32 v[3:4], s[42:43], v10, 24, v[34:35]
	v_mov_b32_e32 v11, v2
	v_ashrrev_i32_e32 v51, 31, v50
	flat_store_dwordx2 v[3:4], v[50:51] offset:8
.LBB2_510:                              ;   in Loop: Header=BB2_491 Depth=2
	s_or_b64 exec, exec, s[28:29]
	v_and_b32_e32 v3, 0x100, v47
	v_cmp_ne_u32_e32 vcc, 0, v3
	s_mov_b64 s[28:29], -1
                                        ; implicit-def: $vgpr38_vgpr39
	s_and_saveexec_b64 s[42:43], vcc
	s_cbranch_execz .LBB2_514
; %bb.511:                              ;   in Loop: Header=BB2_491 Depth=2
	v_mad_u64_u32 v[51:52], s[28:29], v10, 24, v[34:35]
                                        ; implicit-def: $vgpr38_vgpr39
	v_mov_b32_e32 v3, v52
	v_mad_u64_u32 v[3:4], s[28:29], v11, 24, v[3:4]
	v_mov_b32_e32 v52, v3
	flat_load_dword v3, v[51:52]
	s_waitcnt vmcnt(0) lgkmcnt(0)
	v_cmp_ne_u32_e32 vcc, 1, v3
	v_cmp_eq_u32_e64 s[28:29], 1, v3
	s_and_saveexec_b64 s[90:91], s[28:29]
	s_cbranch_execz .LBB2_513
; %bb.512:                              ;   in Loop: Header=BB2_491 Depth=2
	flat_load_dword v38, v[51:52] offset:4 glc
	s_waitcnt vmcnt(0) lgkmcnt(0)
	v_ashrrev_i32_e32 v39, 31, v38
.LBB2_513:                              ;   in Loop: Header=BB2_491 Depth=2
	s_or_b64 exec, exec, s[90:91]
	s_orn2_b64 s[28:29], vcc, exec
.LBB2_514:                              ;   in Loop: Header=BB2_491 Depth=2
	s_or_b64 exec, exec, s[42:43]
	s_and_saveexec_b64 s[42:43], s[28:29]
	s_cbranch_execz .LBB2_516
; %bb.515:                              ;   in Loop: Header=BB2_491 Depth=2
	v_mul_lo_u32 v3, v11, v56
	v_mul_lo_u32 v4, v10, v59
	v_mad_u64_u32 v[38:39], s[28:29], v10, v56, 0
	v_add3_u32 v39, v39, v4, v3
.LBB2_516:                              ;   in Loop: Header=BB2_491 Depth=2
	s_or_b64 exec, exec, s[42:43]
	v_cmp_eq_u32_e32 vcc, 0, v1
	v_cndmask_b32_e32 v1, v42, v19, vcc
	v_add_co_u32_e32 v3, vcc, v22, v38
	v_addc_co_u32_e32 v4, vcc, v23, v39, vcc
	v_add_u32_e32 v1, v0, v1
	ds_write_b64 v1, v[3:4] offset:584
	v_and_b32_e32 v1, 0x2000, v47
	v_cmp_ne_u32_e32 vcc, 0, v1
	s_and_saveexec_b64 s[28:29], vcc
	s_cbranch_execz .LBB2_518
; %bb.517:                              ;   in Loop: Header=BB2_491 Depth=2
	ds_read_b64 v[3:4], v0 offset:872
	s_waitcnt lgkmcnt(0)
	v_add_co_u32_e32 v3, vcc, 1, v3
	v_addc_co_u32_e32 v4, vcc, 0, v4, vcc
	ds_write_b64 v0, v[3:4] offset:872
.LBB2_518:                              ;   in Loop: Header=BB2_491 Depth=2
	s_or_b64 exec, exec, s[28:29]
	v_mov_b32_e32 v39, v9
	v_mov_b32_e32 v38, v8
.LBB2_519:                              ;   in Loop: Header=BB2_491 Depth=2
	s_or_b64 exec, exec, s[40:41]
	s_and_saveexec_b64 s[28:29], s[10:11]
	s_cbranch_execz .LBB2_538
; %bb.520:                              ;   in Loop: Header=BB2_491 Depth=2
	s_and_saveexec_b64 s[40:41], s[56:57]
	s_xor_b64 s[40:41], exec, s[40:41]
	s_cbranch_execz .LBB2_535
; %bb.521:                              ;   in Loop: Header=BB2_491 Depth=2
	s_and_saveexec_b64 s[42:43], s[16:17]
	s_cbranch_execz .LBB2_534
; %bb.522:                              ;   in Loop: Header=BB2_491 Depth=2
	s_mov_b64 s[92:93], exec
	v_mbcnt_lo_u32_b32 v1, s92, 0
	v_mbcnt_hi_u32_b32 v1, s93, v1
	v_cmp_eq_u32_e32 vcc, 0, v1
	s_waitcnt vmcnt(0) lgkmcnt(0)
	buffer_wbinvl1_vol
	s_and_saveexec_b64 s[90:91], vcc
	s_cbranch_execz .LBB2_524
; %bb.523:                              ;   in Loop: Header=BB2_491 Depth=2
	s_bcnt1_i32_b64 s92, s[92:93]
	v_mov_b32_e32 v3, s92
	v_mov_b32_e32 v4, v2
	ds_add_u64 v0, v[3:4]
	s_trap 2
.LBB2_524:                              ;   in Loop: Header=BB2_491 Depth=2
	s_or_b64 exec, exec, s[90:91]
	s_trap 2
	ds_read_b64 v[3:4], v0
	s_waitcnt lgkmcnt(0)
	v_add_co_u32_e32 v12, vcc, v12, v57
	v_addc_co_u32_e32 v13, vcc, 0, v13, vcc
	v_cmp_lt_u64_e32 vcc, v[3:4], v[12:13]
	s_and_saveexec_b64 s[90:91], vcc
	s_cbranch_execz .LBB2_533
; %bb.525:                              ;   in Loop: Header=BB2_491 Depth=2
	s_mov_b32 s38, 0
	s_mov_b64 s[92:93], 0
                                        ; implicit-def: $sgpr94_sgpr95
                                        ; implicit-def: $sgpr30_sgpr31
	s_branch .LBB2_527
.LBB2_526:                              ;   in Loop: Header=BB2_527 Depth=3
	s_or_b64 exec, exec, s[36:37]
	s_and_b64 vcc, exec, vcc
	s_or_b64 s[92:93], vcc, s[92:93]
	s_andn2_b64 s[94:95], s[94:95], exec
	s_and_b64 vcc, s[30:31], exec
	s_or_b64 s[94:95], s[94:95], vcc
	s_andn2_b64 exec, exec, s[92:93]
	s_cbranch_execz .LBB2_531
.LBB2_527:                              ;   Parent Loop BB2_47 Depth=1
                                        ;     Parent Loop BB2_491 Depth=2
                                        ; =>    This Inner Loop Header: Depth=3
	s_add_i32 s38, s38, 1
	s_cmpk_lg_i32 s38, 0x2710
	s_cselect_b64 s[34:35], -1, 0
	s_and_b64 vcc, exec, s[34:35]
	s_cbranch_vccz .LBB2_529
; %bb.528:                              ;   in Loop: Header=BB2_527 Depth=3
	s_mov_b64 vcc, -1
	s_or_b64 s[30:31], s[30:31], exec
	s_and_saveexec_b64 s[36:37], s[34:35]
	s_cbranch_execz .LBB2_526
	s_branch .LBB2_530
.LBB2_529:                              ;   in Loop: Header=BB2_527 Depth=3
	s_trap 2
	ds_read_b64 v[3:4], v0
	s_andn2_b64 s[34:35], s[34:35], exec
	s_mov_b32 s38, 0
	s_waitcnt lgkmcnt(0)
	flat_load_dword v1, v[3:4] glc
	s_waitcnt vmcnt(0) lgkmcnt(0)
	buffer_wbinvl1_vol
	v_cmp_eq_u32_e32 vcc, 0, v1
	s_and_b64 vcc, vcc, exec
	s_or_b64 s[34:35], s[34:35], vcc
	s_mov_b64 vcc, -1
	s_or_b64 s[30:31], s[30:31], exec
	s_and_saveexec_b64 s[36:37], s[34:35]
	s_cbranch_execz .LBB2_526
.LBB2_530:                              ;   in Loop: Header=BB2_527 Depth=3
	s_sleep 1
	s_trap 2
	ds_read_b64 v[3:4], v0
	s_waitcnt lgkmcnt(0)
	s_andn2_b64 s[30:31], s[30:31], exec
	v_cmp_ge_u64_e32 vcc, v[3:4], v[12:13]
	s_orn2_b64 vcc, vcc, exec
	s_branch .LBB2_526
.LBB2_531:                              ;   in Loop: Header=BB2_491 Depth=2
	s_or_b64 exec, exec, s[92:93]
	s_and_saveexec_b64 s[92:93], s[94:95]
	s_xor_b64 s[92:93], exec, s[92:93]
	s_cbranch_execz .LBB2_533
; %bb.532:                              ;   in Loop: Header=BB2_491 Depth=2
	ds_write_b32 v0, v62
	s_trap 2
.LBB2_533:                              ;   in Loop: Header=BB2_491 Depth=2
	s_or_b64 exec, exec, s[90:91]
	;;#ASMSTART
	s_wakeup
	;;#ASMEND
.LBB2_534:                              ;   in Loop: Header=BB2_491 Depth=2
	s_or_b64 exec, exec, s[42:43]
.LBB2_535:                              ;   in Loop: Header=BB2_491 Depth=2
	s_andn2_saveexec_b64 s[40:41], s[40:41]
	s_cbranch_execz .LBB2_537
; %bb.536:                              ;   in Loop: Header=BB2_491 Depth=2
	s_waitcnt vmcnt(0) lgkmcnt(0)
	buffer_wbinvl1_vol
	s_barrier
.LBB2_537:                              ;   in Loop: Header=BB2_491 Depth=2
	s_or_b64 exec, exec, s[40:41]
.LBB2_538:                              ;   in Loop: Header=BB2_491 Depth=2
	s_or_b64 exec, exec, s[28:29]
	s_trap 2
	ds_read_b32 v1, v0
	v_and_b32_e32 v3, 0x4000, v47
	v_cmp_ne_u32_e32 vcc, 0, v3
	s_xor_b64 s[28:29], s[6:7], -1
	s_and_b64 s[40:41], s[28:29], vcc
	s_and_saveexec_b64 s[28:29], s[40:41]
	s_cbranch_execz .LBB2_557
; %bb.539:                              ;   in Loop: Header=BB2_491 Depth=2
	s_and_saveexec_b64 s[40:41], s[56:57]
	s_xor_b64 s[40:41], exec, s[40:41]
	s_cbranch_execz .LBB2_554
; %bb.540:                              ;   in Loop: Header=BB2_491 Depth=2
	s_and_saveexec_b64 s[42:43], s[16:17]
	s_cbranch_execz .LBB2_553
; %bb.541:                              ;   in Loop: Header=BB2_491 Depth=2
	s_mov_b64 s[92:93], exec
	v_mbcnt_lo_u32_b32 v3, s92, 0
	v_mbcnt_hi_u32_b32 v3, s93, v3
	v_cmp_eq_u32_e32 vcc, 0, v3
	s_waitcnt vmcnt(0) lgkmcnt(0)
	buffer_wbinvl1_vol
	s_and_saveexec_b64 s[90:91], vcc
	s_cbranch_execz .LBB2_543
; %bb.542:                              ;   in Loop: Header=BB2_491 Depth=2
	s_bcnt1_i32_b64 s92, s[92:93]
	v_mov_b32_e32 v3, s92
	v_mov_b32_e32 v4, v2
	ds_add_u64 v0, v[3:4]
	s_trap 2
.LBB2_543:                              ;   in Loop: Header=BB2_491 Depth=2
	s_or_b64 exec, exec, s[90:91]
	s_trap 2
	ds_read_b64 v[3:4], v0
	s_waitcnt lgkmcnt(0)
	v_add_co_u32_e32 v12, vcc, v12, v57
	v_addc_co_u32_e32 v13, vcc, 0, v13, vcc
	v_cmp_lt_u64_e32 vcc, v[3:4], v[12:13]
	s_and_saveexec_b64 s[90:91], vcc
	s_cbranch_execz .LBB2_552
; %bb.544:                              ;   in Loop: Header=BB2_491 Depth=2
	s_mov_b32 s38, 0
	s_mov_b64 s[92:93], 0
                                        ; implicit-def: $sgpr94_sgpr95
                                        ; implicit-def: $sgpr30_sgpr31
	s_branch .LBB2_546
.LBB2_545:                              ;   in Loop: Header=BB2_546 Depth=3
	s_or_b64 exec, exec, s[36:37]
	s_and_b64 vcc, exec, vcc
	s_or_b64 s[92:93], vcc, s[92:93]
	s_andn2_b64 s[94:95], s[94:95], exec
	s_and_b64 vcc, s[30:31], exec
	s_or_b64 s[94:95], s[94:95], vcc
	s_andn2_b64 exec, exec, s[92:93]
	s_cbranch_execz .LBB2_550
.LBB2_546:                              ;   Parent Loop BB2_47 Depth=1
                                        ;     Parent Loop BB2_491 Depth=2
                                        ; =>    This Inner Loop Header: Depth=3
	s_add_i32 s38, s38, 1
	s_cmpk_lg_i32 s38, 0x2710
	s_cselect_b64 s[34:35], -1, 0
	s_and_b64 vcc, exec, s[34:35]
	s_cbranch_vccz .LBB2_548
; %bb.547:                              ;   in Loop: Header=BB2_546 Depth=3
	s_mov_b64 vcc, -1
	s_or_b64 s[30:31], s[30:31], exec
	s_and_saveexec_b64 s[36:37], s[34:35]
	s_cbranch_execz .LBB2_545
	s_branch .LBB2_549
.LBB2_548:                              ;   in Loop: Header=BB2_546 Depth=3
	s_trap 2
	ds_read_b64 v[3:4], v0
	s_andn2_b64 s[34:35], s[34:35], exec
	s_mov_b32 s38, 0
	s_waitcnt lgkmcnt(0)
	flat_load_dword v3, v[3:4] glc
	s_waitcnt vmcnt(0) lgkmcnt(0)
	buffer_wbinvl1_vol
	v_cmp_eq_u32_e32 vcc, 0, v3
	s_and_b64 vcc, vcc, exec
	s_or_b64 s[34:35], s[34:35], vcc
	s_mov_b64 vcc, -1
	s_or_b64 s[30:31], s[30:31], exec
	s_and_saveexec_b64 s[36:37], s[34:35]
	s_cbranch_execz .LBB2_545
.LBB2_549:                              ;   in Loop: Header=BB2_546 Depth=3
	s_sleep 1
	s_trap 2
	ds_read_b64 v[3:4], v0
	s_waitcnt lgkmcnt(0)
	s_andn2_b64 s[30:31], s[30:31], exec
	v_cmp_ge_u64_e32 vcc, v[3:4], v[12:13]
	s_orn2_b64 vcc, vcc, exec
	s_branch .LBB2_545
.LBB2_550:                              ;   in Loop: Header=BB2_491 Depth=2
	s_or_b64 exec, exec, s[92:93]
	s_and_saveexec_b64 s[92:93], s[94:95]
	s_xor_b64 s[92:93], exec, s[92:93]
	s_cbranch_execz .LBB2_552
; %bb.551:                              ;   in Loop: Header=BB2_491 Depth=2
	ds_write_b32 v0, v62
	s_trap 2
.LBB2_552:                              ;   in Loop: Header=BB2_491 Depth=2
	s_or_b64 exec, exec, s[90:91]
	;;#ASMSTART
	s_wakeup
	;;#ASMEND
.LBB2_553:                              ;   in Loop: Header=BB2_491 Depth=2
	s_or_b64 exec, exec, s[42:43]
.LBB2_554:                              ;   in Loop: Header=BB2_491 Depth=2
	s_andn2_saveexec_b64 s[40:41], s[40:41]
	s_cbranch_execz .LBB2_556
; %bb.555:                              ;   in Loop: Header=BB2_491 Depth=2
	s_waitcnt vmcnt(0) lgkmcnt(0)
	buffer_wbinvl1_vol
	s_barrier
.LBB2_556:                              ;   in Loop: Header=BB2_491 Depth=2
	s_or_b64 exec, exec, s[40:41]
.LBB2_557:                              ;   in Loop: Header=BB2_491 Depth=2
	s_or_b64 exec, exec, s[28:29]
	s_trap 2
	ds_read_b64 v[30:31], v0
	s_waitcnt lgkmcnt(0)
	v_cmp_eq_u64_e32 vcc, 0, v[30:31]
	s_cbranch_vccnz .LBB2_566
; %bb.558:                              ;   in Loop: Header=BB2_491 Depth=2
	s_trap 2
	ds_read_b64 v[16:17], v0
	s_waitcnt lgkmcnt(0)
	v_cmp_eq_u64_e32 vcc, 0, v[16:17]
	s_cbranch_vccnz .LBB2_566
; %bb.559:                              ;   in Loop: Header=BB2_491 Depth=2
	s_trap 2
	ds_read_b64 v[8:9], v0
	v_cmp_eq_u32_e64 s[28:29], 0, v1
	v_cndmask_b32_e64 v7, 0, v50, s[28:29]
	s_mov_b64 s[28:29], -1
	s_waitcnt lgkmcnt(0)
	v_cmp_ne_u64_e32 vcc, 0, v[8:9]
	s_cbranch_vccz .LBB2_596
; %bb.560:                              ;   in Loop: Header=BB2_491 Depth=2
	s_and_saveexec_b64 s[40:41], s[22:23]
	s_cbranch_execz .LBB2_562
; %bb.561:                              ;   in Loop: Header=BB2_491 Depth=2
	ds_read_b32 v1, v0 offset:720
	s_waitcnt lgkmcnt(0)
	v_and_b32_e32 v1, 15, v1
	v_cmp_eq_u32_e32 vcc, 0, v1
	s_orn2_b64 s[28:29], vcc, exec
.LBB2_562:                              ;   in Loop: Header=BB2_491 Depth=2
	s_or_b64 exec, exec, s[40:41]
	s_and_saveexec_b64 s[40:41], s[22:23]
	s_cbranch_execz .LBB2_564
; %bb.563:                              ;   in Loop: Header=BB2_491 Depth=2
	ds_read_b32 v1, v0 offset:784
	s_waitcnt lgkmcnt(0)
	v_and_b32_e32 v1, 15, v1
	v_cmp_eq_u32_e32 vcc, 0, v1
	s_and_b64 s[42:43], s[28:29], vcc
	s_andn2_b64 s[28:29], s[28:29], exec
	s_and_b64 s[42:43], s[42:43], exec
	s_or_b64 s[28:29], s[28:29], s[42:43]
.LBB2_564:                              ;   in Loop: Header=BB2_491 Depth=2
	s_or_b64 exec, exec, s[40:41]
	s_xor_b64 s[28:29], s[28:29], -1
	v_cndmask_b32_e64 v1, 0, 1, s[28:29]
	s_mov_b64 s[40:41], -1
	v_cmp_ne_u32_e32 vcc, 0, v1
	s_cbranch_vccz .LBB2_567
; %bb.565:                              ;   in Loop: Header=BB2_491 Depth=2
	v_alignbit_b32 v1, v8, v8, 1
	v_readfirstlane_b32 s28, v1
	v_readfirstlane_b32 s49, v1
	s_and_b32 s48, s28, 0x7fffffff
	s_mov_b64 s[40:41], 0
	s_mov_b64 s[90:91], -1
	s_branch .LBB2_568
.LBB2_566:                              ;   in Loop: Header=BB2_491 Depth=2
	s_mov_b64 s[28:29], 0
	s_and_saveexec_b64 s[40:41], s[10:11]
	s_cbranch_execnz .LBB2_626
	s_branch .LBB2_644
.LBB2_567:                              ;   in Loop: Header=BB2_491 Depth=2
	s_mov_b64 s[90:91], 0
                                        ; implicit-def: $sgpr49
                                        ; implicit-def: $sgpr48
.LBB2_568:                              ;   in Loop: Header=BB2_491 Depth=2
	s_andn2_b64 vcc, exec, s[40:41]
	v_mov_b32_e32 v1, 0
	buffer_store_dword v8, off, s[0:3], s33 offset:128 ; 4-byte Folded Spill
	s_nop 0
	buffer_store_dword v9, off, s[0:3], s33 offset:132 ; 4-byte Folded Spill
	s_cbranch_vccnz .LBB2_584
; %bb.569:                              ;   in Loop: Header=BB2_491 Depth=2
	v_ashrrev_i32_e32 v1, 31, v7
	v_lshrrev_b32_e32 v1, 22, v1
	v_add_u32_e32 v1, v7, v1
	v_ashrrev_i32_e32 v3, 10, v1
	v_and_b32_e32 v4, 0xfffffc00, v1
	v_alignbit_b32 v1, v8, v8, 1
	v_readfirstlane_b32 s49, v1
	v_readfirstlane_b32 s28, v1
	buffer_load_dword v1, off, s[0:3], s33 offset:92 ; 4-byte Folded Reload
	v_sub_u32_e32 v5, v7, v4
	s_and_b32 s48, s28, 0x7fffffff
	v_cmp_lt_i32_e64 s[28:29], 15, v5
	v_sub_u32_e32 v59, v7, v46
	s_waitcnt vmcnt(0)
	v_sub_u32_e32 v1, v3, v1
	v_addc_co_u32_e64 v61, vcc, 0, v1, s[28:29]
	v_cmp_lt_i32_e32 vcc, 15, v59
	s_and_saveexec_b64 s[92:93], vcc
	s_cbranch_execz .LBB2_575
; %bb.570:                              ;   in Loop: Header=BB2_491 Depth=2
	buffer_store_dword v5, off, s[0:3], s33 offset:180 ; 4-byte Folded Spill
	buffer_store_dword v4, off, s[0:3], s33 offset:172 ; 4-byte Folded Spill
	;; [unrolled: 1-line block ×3, first 2 shown]
	v_add_co_u32_e32 v42, vcc, v30, v46
	buffer_store_dword v30, off, s[0:3], s33 offset:144 ; 4-byte Folded Spill
	s_nop 0
	buffer_store_dword v31, off, s[0:3], s33 offset:148 ; 4-byte Folded Spill
	v_cvt_f32_u32_e32 v1, s48
	s_sub_i32 s40, 0, s48
	s_trap 2
	ds_read_b64 v[3:4], v0
	v_rcp_iflag_f32_e32 v1, v1
	v_mov_b32_e32 v41, v17
	v_mov_b32_e32 v40, v16
	s_mov_b64 s[30:31], 0
	v_mul_f32_e32 v1, 0x4f7ffffe, v1
	v_cvt_u32_f32_e32 v1, v1
	v_readfirstlane_b32 s41, v1
	s_mul_i32 s40, s40, s41
	s_mul_hi_u32 s40, s41, s40
	s_add_i32 s41, s41, s40
	s_mul_hi_u32 s40, s41, -1
	s_mul_i32 s41, s40, s48
	s_not_b32 s41, s41
	s_add_i32 s42, s40, 1
	s_sub_i32 s43, s41, s48
	s_cmp_ge_u32 s41, s48
	s_cselect_b32 s40, s42, s40
	s_cselect_b32 s41, s43, s41
	s_add_i32 s42, s40, 1
	s_cmp_ge_u32 s41, s48
	s_cselect_b32 s38, s42, s40
	s_cmp_lt_i32 s49, 0
	s_cselect_b64 s[94:95], -1, 0
	v_addc_co_u32_e32 v43, vcc, 0, v31, vcc
	s_waitcnt lgkmcnt(0)
	v_add_co_u32_e32 v44, vcc, v3, v46
	v_addc_co_u32_e32 v45, vcc, 0, v4, vcc
	v_add_co_u32_e32 v52, vcc, v16, v46
	v_addc_co_u32_e32 v48, vcc, 0, v17, vcc
	;; [unrolled: 2-line block ×3, first 2 shown]
.LBB2_571:                              ;   Parent Loop BB2_47 Depth=1
                                        ;     Parent Loop BB2_491 Depth=2
                                        ; =>    This Loop Header: Depth=3
                                        ;         Child Loop BB2_572 Depth 4
	global_load_dwordx4 v[8:11], v[42:43], off glc slc
	global_load_dwordx4 v[16:19], v[44:45], off glc slc
	s_mov_b64 s[34:35], -1
	s_mov_b64 s[36:37], 0
	s_waitcnt vmcnt(0)
	v_and_b32_e32 v3, 0xff00ff, v16
	v_and_b32_e32 v4, 0xff00ff00, v16
	;; [unrolled: 1-line block ×3, first 2 shown]
	v_add_u32_e32 v30, v3, v16
	v_and_b32_e32 v3, 0xff00ff00, v8
	v_and_b32_e32 v5, 0xff00ff, v17
	v_add_u32_e32 v8, v4, v3
	v_and_b32_e32 v3, 0xff00ff, v9
	v_and_b32_e32 v6, 0xff00ff00, v17
	;; [unrolled: 1-line block ×4, first 2 shown]
	v_add_u32_e32 v18, v5, v3
	v_and_b32_e32 v3, 0xff00ff00, v9
	v_add_u32_e32 v9, v6, v3
	v_and_b32_e32 v3, 0xff00ff, v10
	v_and_b32_e32 v34, 0xff00ff, v19
	;; [unrolled: 1-line block ×3, first 2 shown]
	v_add_u32_e32 v54, v7, v3
	v_and_b32_e32 v3, 0xff00ff00, v10
	v_and_b32_e32 v4, 0xff00ff00, v11
	v_cmp_lt_i16_sdwa s[40:41], sext(v30), v2 src0_sel:BYTE_0 src1_sel:DWORD
	v_add_u32_e32 v10, v31, v3
	v_and_b32_e32 v3, 0xff00ff, v11
	v_add_u32_e32 v11, v19, v4
	s_and_b64 vcc, s[94:95], s[40:41]
	v_sub_u16_e32 v4, 0, v30
	v_cndmask_b32_e32 v4, v30, v4, vcc
	v_and_b32_e32 v4, 0xff, v4
	v_mul_hi_u32 v5, v4, s38
	v_perm_b32 v17, v8, v30, s64
	v_perm_b32 v16, v9, v18, s64
	;; [unrolled: 1-line block ×3, first 2 shown]
	v_mul_lo_u32 v6, s48, v5
	v_add_u32_e32 v3, v34, v3
	v_perm_b32 v51, v11, v3, s64
	v_sub_u32_e32 v4, v4, v6
	v_cmp_le_u32_e64 s[40:41], s48, v4
	v_addc_co_u32_e64 v4, s[40:41], 0, v5, s[40:41]
	v_sub_u32_e32 v5, 0, v4
	v_cndmask_b32_e32 v46, v4, v5, vcc
	v_and_b32_e32 v5, 0x8000, v17
	v_lshrrev_b32_e32 v4, 8, v8
	v_cmp_ne_u32_e32 vcc, 0, v5
	s_and_b64 vcc, s[94:95], vcc
	v_sub_u16_e32 v5, 0, v4
	v_cndmask_b32_e32 v4, v4, v5, vcc
	v_and_b32_e32 v4, 0xff, v4
	v_mul_hi_u32 v5, v4, s38
	v_mul_lo_u32 v6, s48, v5
	v_sub_u32_e32 v4, v4, v6
	v_cmp_le_u32_e64 s[40:41], s48, v4
	v_addc_co_u32_e64 v4, s[40:41], 0, v5, s[40:41]
	v_sub_u32_e32 v5, 0, v4
	v_cndmask_b32_e32 v4, v4, v5, vcc
	v_lshrrev_b32_e32 v5, 16, v30
	v_cmp_lt_i16_sdwa s[40:41], sext(v5), v2 src0_sel:BYTE_0 src1_sel:DWORD
	s_and_b64 vcc, s[94:95], s[40:41]
	v_sub_u16_e32 v6, 0, v5
	v_cndmask_b32_e32 v5, v5, v6, vcc
	v_and_b32_e32 v5, 0xff, v5
	v_mul_hi_u32 v6, v5, s38
	v_lshlrev_b32_e32 v4, 8, v4
	v_perm_b32 v4, v4, v46, s71
	v_mul_lo_u32 v7, s48, v6
	v_sub_u32_e32 v5, v5, v7
	v_cmp_le_u32_e64 s[40:41], s48, v5
	v_addc_co_u32_e64 v5, s[40:41], 0, v6, s[40:41]
	v_sub_u32_e32 v6, 0, v5
	v_cndmask_b32_e32 v5, v5, v6, vcc
	v_lshrrev_b32_e32 v6, 24, v8
	v_and_b32_e32 v7, s49, v17
	v_cmp_lt_i32_e32 vcc, -1, v7
	v_sub_u16_e32 v7, 0, v6
	v_cndmask_b32_e32 v6, v7, v6, vcc
	v_and_b32_e32 v6, 0xff, v6
	v_mul_hi_u32 v7, v6, s38
	v_and_b32_e32 v5, 0xff, v5
	v_lshlrev_b32_e32 v5, 16, v5
	v_lshrrev_b32_e32 v17, 8, v9
	v_mul_lo_u32 v8, s48, v7
	v_sub_u32_e32 v6, v6, v8
	v_cmp_le_u32_e64 s[40:41], s48, v6
	v_addc_co_u32_e64 v6, s[40:41], 0, v7, s[40:41]
	v_sub_u32_e32 v7, 0, v6
	v_cndmask_b32_e32 v6, v7, v6, vcc
	v_lshlrev_b32_e32 v6, 24, v6
	v_cmp_lt_i16_sdwa s[40:41], sext(v18), v2 src0_sel:BYTE_0 src1_sel:DWORD
	v_or3_b32 v8, v6, v5, v4
	s_and_b64 vcc, s[94:95], s[40:41]
	v_sub_u16_e32 v4, 0, v18
	v_cndmask_b32_e32 v4, v18, v4, vcc
	v_and_b32_e32 v4, 0xff, v4
	v_mul_hi_u32 v5, v4, s38
	v_mul_lo_u32 v6, s48, v5
	v_sub_u32_e32 v4, v4, v6
	v_cmp_le_u32_e64 s[40:41], s48, v4
	v_addc_co_u32_e64 v4, s[40:41], 0, v5, s[40:41]
	v_sub_u32_e32 v5, 0, v4
	v_cndmask_b32_e32 v30, v4, v5, vcc
	v_and_b32_e32 v4, 0x8000, v16
	v_cmp_ne_u32_e32 vcc, 0, v4
	s_and_b64 vcc, s[94:95], vcc
	v_sub_u16_e32 v4, 0, v17
	v_cndmask_b32_e32 v4, v17, v4, vcc
	v_and_b32_e32 v4, 0xff, v4
	v_mul_hi_u32 v5, v4, s38
	v_mul_lo_u32 v6, s48, v5
	v_sub_u32_e32 v4, v4, v6
	v_cmp_le_u32_e64 s[40:41], s48, v4
	v_addc_co_u32_e64 v4, s[40:41], 0, v5, s[40:41]
	v_sub_u32_e32 v5, 0, v4
	v_cndmask_b32_e32 v4, v4, v5, vcc
	v_lshrrev_b32_e32 v5, 16, v18
	v_cmp_lt_i16_sdwa s[40:41], sext(v5), v2 src0_sel:BYTE_0 src1_sel:DWORD
	s_and_b64 vcc, s[94:95], s[40:41]
	v_sub_u16_e32 v6, 0, v5
	v_cndmask_b32_e32 v5, v5, v6, vcc
	v_and_b32_e32 v5, 0xff, v5
	v_mul_hi_u32 v6, v5, s38
	v_lshlrev_b32_e32 v4, 8, v4
	v_perm_b32 v4, v4, v30, s71
	v_mul_lo_u32 v7, s48, v6
	v_sub_u32_e32 v5, v5, v7
	v_cmp_le_u32_e64 s[40:41], s48, v5
	v_addc_co_u32_e64 v5, s[40:41], 0, v6, s[40:41]
	v_sub_u32_e32 v6, 0, v5
	v_cndmask_b32_e32 v5, v5, v6, vcc
	v_lshrrev_b32_e32 v6, 24, v9
	v_and_b32_e32 v7, s49, v16
	v_cmp_lt_i32_e32 vcc, -1, v7
	v_sub_u16_e32 v7, 0, v6
	v_cndmask_b32_e32 v6, v7, v6, vcc
	v_and_b32_e32 v6, 0xff, v6
	v_mul_hi_u32 v7, v6, s38
	v_and_b32_e32 v5, 0xff, v5
	v_lshlrev_b32_e32 v5, 16, v5
	v_mul_lo_u32 v9, s48, v7
	v_sub_u32_e32 v6, v6, v9
	v_cmp_le_u32_e64 s[40:41], s48, v6
	v_addc_co_u32_e64 v6, s[40:41], 0, v7, s[40:41]
	v_sub_u32_e32 v7, 0, v6
	v_cndmask_b32_e32 v6, v7, v6, vcc
	v_lshlrev_b32_e32 v6, 24, v6
	v_cmp_lt_i16_sdwa s[40:41], sext(v54), v2 src0_sel:BYTE_0 src1_sel:DWORD
	v_or3_b32 v9, v6, v5, v4
	s_and_b64 vcc, s[94:95], s[40:41]
	v_sub_u16_e32 v4, 0, v54
	v_cndmask_b32_e32 v4, v54, v4, vcc
	v_and_b32_e32 v4, 0xff, v4
	v_mul_hi_u32 v5, v4, s38
	v_mul_lo_u32 v6, s48, v5
	v_sub_u32_e32 v4, v4, v6
	v_cmp_le_u32_e64 s[40:41], s48, v4
	v_addc_co_u32_e64 v4, s[40:41], 0, v5, s[40:41]
	v_sub_u32_e32 v5, 0, v4
	v_cndmask_b32_e32 v16, v4, v5, vcc
	v_and_b32_e32 v5, 0x8000, v53
	v_lshrrev_b32_e32 v4, 8, v10
	v_cmp_ne_u32_e32 vcc, 0, v5
	s_and_b64 vcc, s[94:95], vcc
	v_sub_u16_e32 v5, 0, v4
	v_cndmask_b32_e32 v4, v4, v5, vcc
	v_and_b32_e32 v4, 0xff, v4
	v_mul_hi_u32 v5, v4, s38
	v_mul_lo_u32 v6, s48, v5
	v_sub_u32_e32 v4, v4, v6
	v_cmp_le_u32_e64 s[40:41], s48, v4
	v_addc_co_u32_e64 v4, s[40:41], 0, v5, s[40:41]
	v_sub_u32_e32 v5, 0, v4
	v_cndmask_b32_e32 v4, v4, v5, vcc
	v_lshrrev_b32_e32 v5, 16, v54
	v_cmp_lt_i16_sdwa s[40:41], sext(v5), v2 src0_sel:BYTE_0 src1_sel:DWORD
	s_and_b64 vcc, s[94:95], s[40:41]
	v_sub_u16_e32 v6, 0, v5
	v_cndmask_b32_e32 v5, v5, v6, vcc
	v_and_b32_e32 v5, 0xff, v5
	v_mul_hi_u32 v6, v5, s38
	v_lshlrev_b32_e32 v4, 8, v4
	v_perm_b32 v4, v4, v16, s71
	v_mul_lo_u32 v7, s48, v6
	v_sub_u32_e32 v5, v5, v7
	v_cmp_le_u32_e64 s[40:41], s48, v5
	v_addc_co_u32_e64 v5, s[40:41], 0, v6, s[40:41]
	v_sub_u32_e32 v6, 0, v5
	v_cndmask_b32_e32 v5, v5, v6, vcc
	v_lshrrev_b32_e32 v6, 24, v10
	v_and_b32_e32 v7, s49, v53
	v_cmp_lt_i32_e32 vcc, -1, v7
	v_sub_u16_e32 v7, 0, v6
	v_cndmask_b32_e32 v6, v7, v6, vcc
	v_and_b32_e32 v6, 0xff, v6
	v_mul_hi_u32 v7, v6, s38
	v_and_b32_e32 v5, 0xff, v5
	v_lshlrev_b32_e32 v5, 16, v5
	v_mul_lo_u32 v10, s48, v7
	v_sub_u32_e32 v6, v6, v10
	v_cmp_le_u32_e64 s[40:41], s48, v6
	v_addc_co_u32_e64 v6, s[40:41], 0, v7, s[40:41]
	v_sub_u32_e32 v7, 0, v6
	v_cndmask_b32_e32 v6, v7, v6, vcc
	v_lshlrev_b32_e32 v6, 24, v6
	v_cmp_lt_i16_sdwa s[40:41], sext(v3), v2 src0_sel:BYTE_0 src1_sel:DWORD
	v_or3_b32 v10, v6, v5, v4
	s_and_b64 vcc, s[94:95], s[40:41]
	v_sub_u16_e32 v4, 0, v3
	v_cndmask_b32_e32 v4, v3, v4, vcc
	v_and_b32_e32 v4, 0xff, v4
	v_mul_hi_u32 v5, v4, s38
	v_lshrrev_b32_e32 v3, 16, v3
	v_mul_lo_u32 v6, s48, v5
	v_sub_u32_e32 v4, v4, v6
	v_cmp_le_u32_e64 s[40:41], s48, v4
	v_addc_co_u32_e64 v4, s[40:41], 0, v5, s[40:41]
	v_sub_u32_e32 v5, 0, v4
	v_cndmask_b32_e32 v16, v4, v5, vcc
	v_and_b32_e32 v5, 0x8000, v51
	v_lshrrev_b32_e32 v4, 8, v11
	v_cmp_ne_u32_e32 vcc, 0, v5
	s_and_b64 vcc, s[94:95], vcc
	v_sub_u16_e32 v5, 0, v4
	v_cndmask_b32_e32 v4, v4, v5, vcc
	v_and_b32_e32 v4, 0xff, v4
	v_mul_hi_u32 v5, v4, s38
	v_mul_lo_u32 v6, s48, v5
	v_sub_u32_e32 v4, v4, v6
	v_cmp_le_u32_e64 s[40:41], s48, v4
	v_addc_co_u32_e64 v4, s[40:41], 0, v5, s[40:41]
	v_sub_u32_e32 v5, 0, v4
	v_cmp_lt_i16_sdwa s[40:41], sext(v3), v2 src0_sel:BYTE_0 src1_sel:DWORD
	v_cndmask_b32_e32 v4, v4, v5, vcc
	s_and_b64 vcc, s[94:95], s[40:41]
	v_sub_u16_e32 v5, 0, v3
	v_cndmask_b32_e32 v3, v3, v5, vcc
	v_and_b32_e32 v3, 0xff, v3
	v_mul_hi_u32 v5, v3, s38
	v_lshlrev_b32_e32 v4, 8, v4
	v_perm_b32 v4, v4, v16, s71
	v_mul_lo_u32 v6, s48, v5
	v_sub_u32_e32 v3, v3, v6
	v_cmp_le_u32_e64 s[40:41], s48, v3
	v_addc_co_u32_e64 v3, s[40:41], 0, v5, s[40:41]
	v_sub_u32_e32 v5, 0, v3
	v_cndmask_b32_e32 v3, v3, v5, vcc
	v_lshrrev_b32_e32 v5, 24, v11
	v_and_b32_e32 v6, s49, v51
	v_cmp_lt_i32_e32 vcc, -1, v6
	v_sub_u16_e32 v6, 0, v5
	v_cndmask_b32_e32 v5, v6, v5, vcc
	v_and_b32_e32 v5, 0xff, v5
	v_mul_hi_u32 v6, v5, s38
	v_and_b32_e32 v3, 0xff, v3
	v_lshlrev_b32_e32 v3, 16, v3
	v_mul_lo_u32 v7, s48, v6
	v_sub_u32_e32 v5, v5, v7
	v_cmp_le_u32_e64 s[40:41], s48, v5
	v_addc_co_u32_e64 v5, s[40:41], 0, v6, s[40:41]
	v_sub_u32_e32 v6, 0, v5
	v_cndmask_b32_sdwa v5, v6, v5, vcc dst_sel:BYTE_3 dst_unused:UNUSED_PAD src0_sel:DWORD src1_sel:DWORD
	v_or3_b32 v11, v5, v3, v4
.LBB2_572:                              ;   Parent Loop BB2_47 Depth=1
                                        ;     Parent Loop BB2_491 Depth=2
                                        ;       Parent Loop BB2_571 Depth=3
                                        ; =>      This Inner Loop Header: Depth=4
	s_cmp_eq_u32 s36, 1
	s_cselect_b64 s[40:41], -1, 0
	v_cndmask_b32_e64 v4, v48, v1, s[40:41]
	v_cndmask_b32_e64 v3, v52, v49, s[40:41]
	global_store_dwordx4 v[3:4], v[8:11], off glc slc
	v_add_co_u32_e32 v3, vcc, 0x400, v3
	s_cmp_eq_u32 s36, 0
	v_addc_co_u32_e32 v4, vcc, 0, v4, vcc
	s_cselect_b64 vcc, -1, 0
	s_and_b64 s[42:43], exec, s[34:35]
	s_mov_b64 s[36:37], 1
	v_cndmask_b32_e64 v49, v49, v3, s[40:41]
	s_mov_b64 s[34:35], 0
	v_cndmask_b32_e64 v1, v1, v4, s[40:41]
	v_cndmask_b32_e32 v48, v48, v4, vcc
	v_cndmask_b32_e32 v52, v52, v3, vcc
	s_mov_b64 vcc, s[42:43]
	s_cbranch_vccnz .LBB2_572
; %bb.573:                              ;   in Loop: Header=BB2_571 Depth=3
	v_add_co_u32_e32 v42, vcc, v42, v28
	v_addc_co_u32_e32 v43, vcc, v43, v29, vcc
	v_add_co_u32_e32 v44, vcc, v44, v28
	v_addc_co_u32_e32 v45, vcc, v45, v29, vcc
	;; [unrolled: 2-line block ×4, first 2 shown]
	v_sub_u32_e32 v59, v59, v14
	v_cmp_gt_i32_e32 vcc, 16, v59
	s_or_b64 s[30:31], vcc, s[30:31]
	v_sub_u32_e32 v61, v61, v57
	s_andn2_b64 exec, exec, s[30:31]
	s_cbranch_execnz .LBB2_571
; %bb.574:                              ;   in Loop: Header=BB2_491 Depth=2
	s_or_b64 exec, exec, s[30:31]
	buffer_load_dword v34, off, s[0:3], s33 offset:76 ; 4-byte Folded Reload
	buffer_load_dword v35, off, s[0:3], s33 offset:80 ; 4-byte Folded Reload
	;; [unrolled: 1-line block ×15, first 2 shown]
	v_mov_b32_e32 v16, v40
	v_mov_b32_e32 v19, 0x90
	;; [unrolled: 1-line block ×3, first 2 shown]
.LBB2_575:                              ;   in Loop: Header=BB2_491 Depth=2
	s_or_b64 exec, exec, s[92:93]
	s_waitcnt vmcnt(6)
	v_and_b32_e32 v3, 15, v7
	s_waitcnt vmcnt(0)
	v_cndmask_b32_e64 v59, v5, v3, s[28:29]
	v_cmp_ne_u32_e32 vcc, 0, v59
                                        ; implicit-def: $vgpr48
                                        ; implicit-def: $vgpr1
                                        ; implicit-def: $vgpr49
	s_and_saveexec_b64 s[92:93], vcc
	s_cbranch_execz .LBB2_583
; %bb.576:                              ;   in Loop: Header=BB2_491 Depth=2
	v_sub_u32_e32 v1, v5, v3
	v_cndmask_b32_e64 v1, 0, v1, s[28:29]
	v_cmp_lt_i32_e32 vcc, 0, v61
	v_add_u32_e32 v6, v1, v4
	v_cndmask_b32_e32 v1, 0, v57, vcc
	v_sub_u32_e32 v1, v1, v61
	v_lshl_or_b32 v1, v1, 6, v58
	v_ashrrev_i32_e32 v3, 31, v1
	v_lshrrev_b32_e32 v3, 26, v3
	v_add_u32_e32 v3, v1, v3
	v_ashrrev_i32_e32 v4, 6, v3
	v_and_b32_e32 v3, 0xffffffc0, v3
	v_sub_u32_e32 v10, v1, v3
	v_ashrrev_i32_e32 v3, 31, v59
	v_lshrrev_b32_e32 v3, 22, v3
	v_add_u32_e32 v3, v59, v3
	v_and_b32_e32 v11, 0xfffffc00, v3
	v_lshlrev_b32_e32 v1, 4, v10
	v_sub_u32_e32 v18, v59, v11
	v_lshl_add_u32 v1, v4, 10, v1
	v_ashrrev_i32_e32 v5, 10, v3
	v_cmp_lt_i32_e64 s[28:29], 15, v18
	v_sub_u32_e32 v51, v59, v1
	v_addc_co_u32_e64 v3, vcc, 0, v5, s[28:29]
	v_sub_u32_e32 v61, v3, v4
	v_cmp_lt_i32_e32 vcc, 15, v51
	s_and_saveexec_b64 s[94:95], vcc
	s_cbranch_execz .LBB2_582
; %bb.577:                              ;   in Loop: Header=BB2_491 Depth=2
	v_cvt_f32_u32_e32 v3, s48
	v_add_u32_e32 v1, v1, v6
	buffer_store_dword v18, off, s[0:3], s33 offset:220 ; 4-byte Folded Spill
	buffer_store_dword v11, off, s[0:3], s33 offset:216 ; 4-byte Folded Spill
	;; [unrolled: 1-line block ×4, first 2 shown]
	s_trap 2
	v_rcp_iflag_f32_e32 v3, v3
	v_add_co_u32_e32 v42, vcc, v1, v30
	v_mov_b32_e32 v41, v6
	v_mul_f32_e32 v3, 0x4f7ffffe, v3
	v_cvt_u32_f32_e32 v5, v3
	ds_read_b64 v[3:4], v0
	buffer_store_dword v30, off, s[0:3], s33 offset:144 ; 4-byte Folded Spill
	s_nop 0
	buffer_store_dword v31, off, s[0:3], s33 offset:148 ; 4-byte Folded Spill
	v_ashrrev_i32_e32 v6, 31, v1
	s_sub_i32 s40, 0, s48
	v_readfirstlane_b32 s41, v5
	s_mul_i32 s40, s40, s41
	s_mul_hi_u32 s40, s41, s40
	s_add_i32 s41, s41, s40
	s_mul_hi_u32 s40, s41, -1
	s_mul_i32 s41, s40, s48
	s_not_b32 s41, s41
	s_add_i32 s42, s40, 1
	s_sub_i32 s43, s41, s48
	s_cmp_ge_u32 s41, s48
	s_cselect_b32 s40, s42, s40
	s_cselect_b32 s41, s43, s41
	s_add_i32 s42, s40, 1
	s_cmp_ge_u32 s41, s48
	s_cselect_b32 s50, s42, s40
	s_cmp_lt_i32 s49, 0
	s_cselect_b64 s[30:31], -1, 0
	s_mov_b64 s[34:35], 0
	v_addc_co_u32_e32 v43, vcc, v6, v31, vcc
	s_waitcnt lgkmcnt(0)
	v_add_co_u32_e32 v44, vcc, v3, v1
	v_addc_co_u32_e32 v45, vcc, v4, v6, vcc
	v_add_co_u32_e32 v52, vcc, v1, v16
	buffer_store_dword v16, off, s[0:3], s33 offset:172 ; 4-byte Folded Spill
	s_nop 0
	buffer_store_dword v17, off, s[0:3], s33 offset:176 ; 4-byte Folded Spill
	v_addc_co_u32_e32 v48, vcc, v6, v17, vcc
	v_add_co_u32_e32 v49, vcc, v1, v8
	v_addc_co_u32_e32 v1, vcc, v6, v9, vcc
.LBB2_578:                              ;   Parent Loop BB2_47 Depth=1
                                        ;     Parent Loop BB2_491 Depth=2
                                        ; =>    This Loop Header: Depth=3
                                        ;         Child Loop BB2_579 Depth 4
	global_load_dwordx4 v[8:11], v[42:43], off glc slc
	global_load_dwordx4 v[16:19], v[44:45], off glc slc
	s_mov_b64 s[36:37], -1
	s_mov_b64 s[38:39], 0
	s_waitcnt vmcnt(0)
	v_and_b32_e32 v3, 0xff00ff, v16
	v_and_b32_e32 v4, 0xff00ff00, v16
	;; [unrolled: 1-line block ×3, first 2 shown]
	v_add_u32_e32 v46, v3, v16
	v_and_b32_e32 v3, 0xff00ff00, v8
	v_cmp_lt_i16_sdwa s[40:41], sext(v46), v2 src0_sel:BYTE_0 src1_sel:DWORD
	v_add_u32_e32 v8, v4, v3
	s_and_b64 vcc, s[30:31], s[40:41]
	v_sub_u16_e32 v4, 0, v46
	v_cndmask_b32_e32 v4, v46, v4, vcc
	v_and_b32_e32 v5, 0xff00ff, v17
	v_and_b32_e32 v3, 0xff00ff, v9
	;; [unrolled: 1-line block ×3, first 2 shown]
	v_add_u32_e32 v30, v5, v3
	v_mul_hi_u32 v5, v4, s50
	v_and_b32_e32 v6, 0xff00ff00, v17
	v_and_b32_e32 v3, 0xff00ff00, v9
	v_add_u32_e32 v9, v6, v3
	v_mul_lo_u32 v6, s48, v5
	v_perm_b32 v17, v8, v46, s64
	v_and_b32_e32 v7, 0xff00ff, v18
	v_and_b32_e32 v3, 0xff00ff, v10
	v_sub_u32_e32 v4, v4, v6
	v_cmp_le_u32_e64 s[40:41], s48, v4
	v_addc_co_u32_e64 v4, s[40:41], 0, v5, s[40:41]
	v_sub_u32_e32 v5, 0, v4
	v_cndmask_b32_e32 v40, v4, v5, vcc
	v_and_b32_e32 v5, 0x8000, v17
	v_lshrrev_b32_e32 v4, 8, v8
	v_cmp_ne_u32_e32 vcc, 0, v5
	s_and_b64 vcc, s[30:31], vcc
	v_sub_u16_e32 v5, 0, v4
	v_cndmask_b32_e32 v4, v4, v5, vcc
	v_and_b32_e32 v4, 0xff, v4
	v_mul_hi_u32 v5, v4, s50
	v_add_u32_e32 v16, v7, v3
	v_and_b32_e32 v31, 0xff00ff00, v18
	v_perm_b32 v18, v9, v30, s64
	v_mul_lo_u32 v6, s48, v5
	v_and_b32_e32 v3, 0xff00ff00, v10
	v_add_u32_e32 v10, v31, v3
	v_perm_b32 v54, v10, v16, s64
	v_sub_u32_e32 v4, v4, v6
	v_cmp_le_u32_e64 s[40:41], s48, v4
	v_addc_co_u32_e64 v4, s[40:41], 0, v5, s[40:41]
	v_sub_u32_e32 v5, 0, v4
	v_cndmask_b32_e32 v4, v4, v5, vcc
	v_lshrrev_b32_e32 v5, 16, v46
	v_cmp_lt_i16_sdwa s[40:41], sext(v5), v2 src0_sel:BYTE_0 src1_sel:DWORD
	s_and_b64 vcc, s[30:31], s[40:41]
	v_sub_u16_e32 v6, 0, v5
	v_cndmask_b32_e32 v5, v5, v6, vcc
	v_and_b32_e32 v5, 0xff, v5
	v_mul_hi_u32 v6, v5, s50
	v_lshlrev_b32_e32 v4, 8, v4
	v_perm_b32 v4, v4, v40, s71
	v_lshrrev_b32_e32 v46, 8, v9
	v_mul_lo_u32 v7, s48, v6
	v_and_b32_e32 v34, 0xff00ff, v19
	v_and_b32_e32 v3, 0xff00ff, v11
	v_add_u32_e32 v53, v34, v3
	v_sub_u32_e32 v5, v5, v7
	v_cmp_le_u32_e64 s[40:41], s48, v5
	v_addc_co_u32_e64 v5, s[40:41], 0, v6, s[40:41]
	v_sub_u32_e32 v6, 0, v5
	v_cndmask_b32_e32 v5, v5, v6, vcc
	v_lshrrev_b32_e32 v6, 24, v8
	v_and_b32_e32 v7, s49, v17
	v_cmp_lt_i32_e32 vcc, -1, v7
	v_sub_u16_e32 v7, 0, v6
	v_cndmask_b32_e32 v6, v7, v6, vcc
	v_and_b32_e32 v6, 0xff, v6
	v_mul_hi_u32 v7, v6, s50
	v_and_b32_e32 v5, 0xff, v5
	v_lshlrev_b32_e32 v5, 16, v5
	v_and_b32_e32 v19, 0xff00ff00, v19
	v_mul_lo_u32 v8, s48, v7
	v_and_b32_e32 v3, 0xff00ff00, v11
	v_add_u32_e32 v11, v19, v3
	v_perm_b32 v3, v11, v53, s64
	v_sub_u32_e32 v6, v6, v8
	v_cmp_le_u32_e64 s[40:41], s48, v6
	v_addc_co_u32_e64 v6, s[40:41], 0, v7, s[40:41]
	v_sub_u32_e32 v7, 0, v6
	v_cndmask_b32_e32 v6, v7, v6, vcc
	v_lshlrev_b32_e32 v6, 24, v6
	v_cmp_lt_i16_sdwa s[40:41], sext(v30), v2 src0_sel:BYTE_0 src1_sel:DWORD
	v_or3_b32 v8, v6, v5, v4
	s_and_b64 vcc, s[30:31], s[40:41]
	v_sub_u16_e32 v4, 0, v30
	v_cndmask_b32_e32 v4, v30, v4, vcc
	v_and_b32_e32 v4, 0xff, v4
	v_mul_hi_u32 v5, v4, s50
	v_mul_lo_u32 v6, s48, v5
	v_sub_u32_e32 v4, v4, v6
	v_cmp_le_u32_e64 s[40:41], s48, v4
	v_addc_co_u32_e64 v4, s[40:41], 0, v5, s[40:41]
	v_sub_u32_e32 v5, 0, v4
	v_cndmask_b32_e32 v17, v4, v5, vcc
	v_and_b32_e32 v4, 0x8000, v18
	v_cmp_ne_u32_e32 vcc, 0, v4
	s_and_b64 vcc, s[30:31], vcc
	v_sub_u16_e32 v4, 0, v46
	v_cndmask_b32_e32 v4, v46, v4, vcc
	v_and_b32_e32 v4, 0xff, v4
	v_mul_hi_u32 v5, v4, s50
	v_mul_lo_u32 v6, s48, v5
	v_sub_u32_e32 v4, v4, v6
	v_cmp_le_u32_e64 s[40:41], s48, v4
	v_addc_co_u32_e64 v4, s[40:41], 0, v5, s[40:41]
	v_sub_u32_e32 v5, 0, v4
	v_cndmask_b32_e32 v4, v4, v5, vcc
	v_lshrrev_b32_e32 v5, 16, v30
	v_cmp_lt_i16_sdwa s[40:41], sext(v5), v2 src0_sel:BYTE_0 src1_sel:DWORD
	s_and_b64 vcc, s[30:31], s[40:41]
	v_sub_u16_e32 v6, 0, v5
	v_cndmask_b32_e32 v5, v5, v6, vcc
	v_and_b32_e32 v5, 0xff, v5
	v_mul_hi_u32 v6, v5, s50
	v_lshlrev_b32_e32 v4, 8, v4
	v_perm_b32 v4, v4, v17, s71
	v_mul_lo_u32 v7, s48, v6
	v_sub_u32_e32 v5, v5, v7
	v_cmp_le_u32_e64 s[40:41], s48, v5
	v_addc_co_u32_e64 v5, s[40:41], 0, v6, s[40:41]
	v_sub_u32_e32 v6, 0, v5
	v_cndmask_b32_e32 v5, v5, v6, vcc
	v_lshrrev_b32_e32 v6, 24, v9
	v_and_b32_e32 v7, s49, v18
	v_cmp_lt_i32_e32 vcc, -1, v7
	v_sub_u16_e32 v7, 0, v6
	v_cndmask_b32_e32 v6, v7, v6, vcc
	v_and_b32_e32 v6, 0xff, v6
	v_mul_hi_u32 v7, v6, s50
	v_and_b32_e32 v5, 0xff, v5
	v_lshlrev_b32_e32 v5, 16, v5
	v_mul_lo_u32 v9, s48, v7
	v_sub_u32_e32 v6, v6, v9
	v_cmp_le_u32_e64 s[40:41], s48, v6
	v_addc_co_u32_e64 v6, s[40:41], 0, v7, s[40:41]
	v_sub_u32_e32 v7, 0, v6
	v_cndmask_b32_e32 v6, v7, v6, vcc
	v_lshlrev_b32_e32 v6, 24, v6
	v_cmp_lt_i16_sdwa s[40:41], sext(v16), v2 src0_sel:BYTE_0 src1_sel:DWORD
	v_or3_b32 v9, v6, v5, v4
	s_and_b64 vcc, s[30:31], s[40:41]
	v_sub_u16_e32 v4, 0, v16
	v_cndmask_b32_e32 v4, v16, v4, vcc
	v_and_b32_e32 v4, 0xff, v4
	v_mul_hi_u32 v5, v4, s50
	v_mul_lo_u32 v6, s48, v5
	v_sub_u32_e32 v4, v4, v6
	v_cmp_le_u32_e64 s[40:41], s48, v4
	v_addc_co_u32_e64 v4, s[40:41], 0, v5, s[40:41]
	v_sub_u32_e32 v5, 0, v4
	v_cndmask_b32_e32 v17, v4, v5, vcc
	v_and_b32_e32 v5, 0x8000, v54
	v_lshrrev_b32_e32 v4, 8, v10
	v_cmp_ne_u32_e32 vcc, 0, v5
	s_and_b64 vcc, s[30:31], vcc
	v_sub_u16_e32 v5, 0, v4
	v_cndmask_b32_e32 v4, v4, v5, vcc
	v_and_b32_e32 v4, 0xff, v4
	v_mul_hi_u32 v5, v4, s50
	v_mul_lo_u32 v6, s48, v5
	v_sub_u32_e32 v4, v4, v6
	v_cmp_le_u32_e64 s[40:41], s48, v4
	v_addc_co_u32_e64 v4, s[40:41], 0, v5, s[40:41]
	v_sub_u32_e32 v5, 0, v4
	v_cndmask_b32_e32 v4, v4, v5, vcc
	v_lshrrev_b32_e32 v5, 16, v16
	v_cmp_lt_i16_sdwa s[40:41], sext(v5), v2 src0_sel:BYTE_0 src1_sel:DWORD
	s_and_b64 vcc, s[30:31], s[40:41]
	v_sub_u16_e32 v6, 0, v5
	v_cndmask_b32_e32 v5, v5, v6, vcc
	v_and_b32_e32 v5, 0xff, v5
	v_mul_hi_u32 v6, v5, s50
	v_lshlrev_b32_e32 v4, 8, v4
	v_perm_b32 v4, v4, v17, s71
	v_mul_lo_u32 v7, s48, v6
	v_sub_u32_e32 v5, v5, v7
	v_cmp_le_u32_e64 s[40:41], s48, v5
	v_addc_co_u32_e64 v5, s[40:41], 0, v6, s[40:41]
	v_sub_u32_e32 v6, 0, v5
	v_cndmask_b32_e32 v5, v5, v6, vcc
	v_lshrrev_b32_e32 v6, 24, v10
	v_and_b32_e32 v7, s49, v54
	v_cmp_lt_i32_e32 vcc, -1, v7
	v_sub_u16_e32 v7, 0, v6
	v_cndmask_b32_e32 v6, v7, v6, vcc
	v_and_b32_e32 v6, 0xff, v6
	v_mul_hi_u32 v7, v6, s50
	v_and_b32_e32 v5, 0xff, v5
	v_lshlrev_b32_e32 v5, 16, v5
	v_mul_lo_u32 v10, s48, v7
	v_sub_u32_e32 v6, v6, v10
	v_cmp_le_u32_e64 s[40:41], s48, v6
	v_addc_co_u32_e64 v6, s[40:41], 0, v7, s[40:41]
	v_sub_u32_e32 v7, 0, v6
	v_cndmask_b32_e32 v6, v7, v6, vcc
	v_lshlrev_b32_e32 v6, 24, v6
	v_cmp_lt_i16_sdwa s[40:41], sext(v53), v2 src0_sel:BYTE_0 src1_sel:DWORD
	v_or3_b32 v10, v6, v5, v4
	s_and_b64 vcc, s[30:31], s[40:41]
	v_sub_u16_e32 v4, 0, v53
	v_cndmask_b32_e32 v4, v53, v4, vcc
	v_and_b32_e32 v4, 0xff, v4
	v_mul_hi_u32 v5, v4, s50
	v_mul_lo_u32 v6, s48, v5
	v_sub_u32_e32 v4, v4, v6
	v_cmp_le_u32_e64 s[40:41], s48, v4
	v_addc_co_u32_e64 v4, s[40:41], 0, v5, s[40:41]
	v_sub_u32_e32 v5, 0, v4
	v_cndmask_b32_e32 v16, v4, v5, vcc
	v_and_b32_e32 v5, 0x8000, v3
	v_lshrrev_b32_e32 v4, 8, v11
	v_cmp_ne_u32_e32 vcc, 0, v5
	s_and_b64 vcc, s[30:31], vcc
	v_sub_u16_e32 v5, 0, v4
	v_cndmask_b32_e32 v4, v4, v5, vcc
	v_and_b32_e32 v4, 0xff, v4
	v_mul_hi_u32 v5, v4, s50
	v_and_b32_e32 v3, s49, v3
	v_mul_lo_u32 v6, s48, v5
	v_sub_u32_e32 v4, v4, v6
	v_cmp_le_u32_e64 s[40:41], s48, v4
	v_addc_co_u32_e64 v4, s[40:41], 0, v5, s[40:41]
	v_sub_u32_e32 v5, 0, v4
	v_cndmask_b32_e32 v4, v4, v5, vcc
	v_lshrrev_b32_e32 v5, 16, v53
	v_cmp_lt_i16_sdwa s[40:41], sext(v5), v2 src0_sel:BYTE_0 src1_sel:DWORD
	s_and_b64 vcc, s[30:31], s[40:41]
	v_sub_u16_e32 v6, 0, v5
	v_cndmask_b32_e32 v5, v5, v6, vcc
	v_and_b32_e32 v5, 0xff, v5
	v_mul_hi_u32 v6, v5, s50
	v_lshlrev_b32_e32 v4, 8, v4
	v_perm_b32 v4, v4, v16, s71
	v_mul_lo_u32 v7, s48, v6
	v_sub_u32_e32 v5, v5, v7
	v_cmp_le_u32_e64 s[40:41], s48, v5
	v_addc_co_u32_e64 v5, s[40:41], 0, v6, s[40:41]
	v_sub_u32_e32 v6, 0, v5
	v_cndmask_b32_e32 v5, v5, v6, vcc
	v_lshrrev_b32_e32 v6, 24, v11
	v_cmp_lt_i32_e32 vcc, -1, v3
	v_sub_u16_e32 v3, 0, v6
	v_cndmask_b32_e32 v3, v3, v6, vcc
	v_and_b32_e32 v3, 0xff, v3
	v_mul_hi_u32 v6, v3, s50
	v_and_b32_e32 v5, 0xff, v5
	v_lshlrev_b32_e32 v5, 16, v5
	v_mul_lo_u32 v7, s48, v6
	v_sub_u32_e32 v3, v3, v7
	v_cmp_le_u32_e64 s[40:41], s48, v3
	v_addc_co_u32_e64 v3, s[40:41], 0, v6, s[40:41]
	v_sub_u32_e32 v6, 0, v3
	v_cndmask_b32_sdwa v3, v6, v3, vcc dst_sel:BYTE_3 dst_unused:UNUSED_PAD src0_sel:DWORD src1_sel:DWORD
	v_or3_b32 v11, v3, v5, v4
.LBB2_579:                              ;   Parent Loop BB2_47 Depth=1
                                        ;     Parent Loop BB2_491 Depth=2
                                        ;       Parent Loop BB2_578 Depth=3
                                        ; =>      This Inner Loop Header: Depth=4
	s_cmp_eq_u32 s38, 1
	s_cselect_b64 s[40:41], -1, 0
	v_cndmask_b32_e64 v4, v48, v1, s[40:41]
	v_cndmask_b32_e64 v3, v52, v49, s[40:41]
	global_store_dwordx4 v[3:4], v[8:11], off glc slc
	v_add_co_u32_e32 v3, vcc, 0x400, v3
	s_cmp_eq_u32 s38, 0
	v_addc_co_u32_e32 v4, vcc, 0, v4, vcc
	s_cselect_b64 vcc, -1, 0
	s_and_b64 s[42:43], exec, s[36:37]
	s_mov_b64 s[38:39], 1
	v_cndmask_b32_e64 v49, v49, v3, s[40:41]
	s_mov_b64 s[36:37], 0
	v_cndmask_b32_e64 v1, v1, v4, s[40:41]
	v_cndmask_b32_e32 v48, v48, v4, vcc
	v_cndmask_b32_e32 v52, v52, v3, vcc
	s_mov_b64 vcc, s[42:43]
	s_cbranch_vccnz .LBB2_579
; %bb.580:                              ;   in Loop: Header=BB2_578 Depth=3
	v_add_co_u32_e32 v42, vcc, v42, v28
	v_addc_co_u32_e32 v43, vcc, v43, v29, vcc
	v_add_co_u32_e32 v44, vcc, v44, v28
	v_addc_co_u32_e32 v45, vcc, v45, v29, vcc
	;; [unrolled: 2-line block ×4, first 2 shown]
	v_sub_u32_e32 v51, v51, v14
	v_cmp_gt_i32_e32 vcc, 16, v51
	s_or_b64 s[34:35], vcc, s[34:35]
	v_sub_u32_e32 v61, v61, v57
	s_andn2_b64 exec, exec, s[34:35]
	s_cbranch_execnz .LBB2_578
; %bb.581:                              ;   in Loop: Header=BB2_491 Depth=2
	s_or_b64 exec, exec, s[34:35]
	buffer_load_dword v34, off, s[0:3], s33 offset:76 ; 4-byte Folded Reload
	buffer_load_dword v35, off, s[0:3], s33 offset:80 ; 4-byte Folded Reload
	;; [unrolled: 1-line block ×16, first 2 shown]
	v_mov_b32_e32 v19, 0x90
	v_mov_b32_e32 v6, v41
.LBB2_582:                              ;   in Loop: Header=BB2_491 Depth=2
	s_or_b64 exec, exec, s[94:95]
	v_and_b32_e32 v3, 15, v59
	s_waitcnt vmcnt(0)
	v_cndmask_b32_e64 v48, v18, v3, s[28:29]
	v_cmp_lt_i32_e32 vcc, 0, v61
	v_sub_u32_e32 v1, v18, v3
	v_cndmask_b32_e32 v3, 0, v57, vcc
	v_cmp_ne_u32_e32 vcc, 0, v48
	v_cndmask_b32_e64 v1, 0, v1, s[28:29]
	v_sub_u32_e32 v3, v3, v61
	s_andn2_b64 s[28:29], s[90:91], exec
	s_and_b64 s[40:41], vcc, exec
	v_add3_u32 v1, v11, v6, v1
	v_lshl_add_u32 v49, v3, 6, v10
	s_or_b64 s[90:91], s[28:29], s[40:41]
.LBB2_583:                              ;   in Loop: Header=BB2_491 Depth=2
	s_or_b64 exec, exec, s[92:93]
	buffer_load_dword v61, off, s[0:3], s33 offset:136 ; 4-byte Folded Reload
	v_ashrrev_i32_e32 v59, 31, v56
	s_and_saveexec_b64 s[42:43], s[90:91]
	s_cbranch_execnz .LBB2_585
	s_branch .LBB2_595
.LBB2_584:                              ;   in Loop: Header=BB2_491 Depth=2
	v_mov_b32_e32 v48, v7
	v_mov_b32_e32 v49, v61
	s_and_saveexec_b64 s[42:43], s[90:91]
	s_cbranch_execz .LBB2_595
.LBB2_585:                              ;   in Loop: Header=BB2_491 Depth=2
	v_ashrrev_i32_e32 v3, 31, v49
	v_ashrrev_i32_e32 v4, 31, v48
	v_lshrrev_b32_e32 v3, 26, v3
	v_lshrrev_b32_e32 v4, 23, v4
	v_add_u32_e32 v3, v49, v3
	v_add_u32_e32 v4, v48, v4
	v_ashrrev_i32_e32 v51, 6, v3
	v_ashrrev_i32_e32 v59, 9, v4
	v_sub_u32_e32 v52, v59, v51
	v_cmp_lt_i32_e32 vcc, 0, v52
	s_and_saveexec_b64 s[40:41], vcc
	s_cbranch_execz .LBB2_589
; %bb.586:                              ;   in Loop: Header=BB2_491 Depth=2
	v_cvt_f32_u32_e32 v4, s48
	v_and_b32_e32 v3, 0xffffffc0, v3
	v_lshlrev_b32_e32 v5, 9, v51
	v_sub_u32_e32 v3, v49, v3
	v_rcp_iflag_f32_e32 v4, v4
	v_add3_u32 v5, v1, v3, v5
	buffer_store_dword v7, off, s[0:3], s33 offset:140 ; 4-byte Folded Spill
	s_trap 2
	v_mul_f32_e32 v4, 0x4f7ffffe, v4
	v_cvt_u32_f32_e32 v4, v4
	v_add_co_u32_e32 v8, vcc, v5, v30
	v_ashrrev_i32_e32 v6, 31, v5
	v_readfirstlane_b32 s29, v4
	ds_read_b64 v[3:4], v0
	buffer_store_dword v30, off, s[0:3], s33 offset:144 ; 4-byte Folded Spill
	s_nop 0
	buffer_store_dword v31, off, s[0:3], s33 offset:148 ; 4-byte Folded Spill
	s_sub_i32 s28, 0, s48
	s_mul_i32 s28, s28, s29
	s_mul_hi_u32 s28, s29, s28
	s_add_i32 s29, s29, s28
	s_mul_hi_u32 s28, s29, -1
	s_mul_i32 s29, s28, s48
	s_not_b32 s29, s29
	s_add_i32 s90, s28, 1
	s_sub_i32 s91, s29, s48
	s_cmp_ge_u32 s29, s48
	s_cselect_b32 s28, s90, s28
	s_cselect_b32 s29, s91, s29
	s_add_i32 s90, s28, 1
	s_cmp_ge_u32 s29, s48
	s_cselect_b32 s94, s90, s28
	v_mov_b32_e32 v41, v17
	s_cmp_lt_i32 s49, 0
	v_mov_b32_e32 v40, v16
	s_cselect_b64 s[90:91], -1, 0
	s_mov_b64 s[92:93], 0
	v_addc_co_u32_e32 v9, vcc, v6, v31, vcc
	s_waitcnt lgkmcnt(0)
	v_add_co_u32_e32 v10, vcc, v3, v5
	v_addc_co_u32_e32 v11, vcc, v4, v6, vcc
	buffer_load_dword v3, off, s[0:3], s33 offset:128 ; 4-byte Folded Reload
	buffer_load_dword v4, off, s[0:3], s33 offset:132 ; 4-byte Folded Reload
	v_add_co_u32_e32 v42, vcc, v5, v16
	v_addc_co_u32_e32 v43, vcc, v6, v17, vcc
	s_waitcnt vmcnt(0)
	v_add_co_u32_e32 v44, vcc, v5, v3
	v_addc_co_u32_e32 v45, vcc, v6, v4, vcc
.LBB2_587:                              ;   Parent Loop BB2_47 Depth=1
                                        ;     Parent Loop BB2_491 Depth=2
                                        ; =>    This Inner Loop Header: Depth=3
	flat_load_ubyte v3, v[8:9] glc slc
	flat_load_ubyte v4, v[8:9] offset:64 glc slc
	flat_load_ubyte v5, v[8:9] offset:128 glc slc
	;; [unrolled: 1-line block ×7, first 2 shown]
	flat_load_ubyte v19, v[10:11] glc slc
	flat_load_ubyte v30, v[10:11] offset:64 glc slc
	flat_load_ubyte v31, v[10:11] offset:128 glc slc
	;; [unrolled: 1-line block ×7, first 2 shown]
	v_sub_u32_e32 v52, v52, v57
	s_waitcnt vmcnt(0) lgkmcnt(0)
	v_add_u16_e32 v3, v19, v3
	v_cmp_lt_i16_sdwa s[28:29], sext(v3), v2 src0_sel:BYTE_0 src1_sel:DWORD
	s_and_b64 vcc, s[90:91], s[28:29]
	v_sub_u16_e32 v19, 0, v3
	v_cndmask_b32_e32 v3, v3, v19, vcc
	v_and_b32_e32 v3, 0xff, v3
	v_mul_hi_u32 v19, v3, s94
	v_add_u16_e32 v4, v30, v4
	v_add_u16_e32 v5, v31, v5
	;; [unrolled: 1-line block ×3, first 2 shown]
	v_mul_lo_u32 v30, s48, v19
	v_add_u16_e32 v7, v35, v7
	v_add_u16_e32 v16, v36, v16
	v_add_u16_e32 v17, v37, v17
	v_sub_u32_e32 v3, v3, v30
	v_cmp_le_u32_e64 s[28:29], s48, v3
	v_addc_co_u32_e64 v3, s[28:29], 0, v19, s[28:29]
	v_sub_u32_e32 v19, 0, v3
	v_cmp_lt_i16_sdwa s[28:29], sext(v4), v2 src0_sel:BYTE_0 src1_sel:DWORD
	v_cndmask_b32_e32 v3, v3, v19, vcc
	s_and_b64 vcc, s[90:91], s[28:29]
	v_sub_u16_e32 v19, 0, v4
	v_cndmask_b32_e32 v4, v4, v19, vcc
	v_and_b32_e32 v4, 0xff, v4
	v_mul_hi_u32 v19, v4, s94
	v_add_u16_e32 v18, v53, v18
	v_mul_lo_u32 v30, s48, v19
	v_sub_u32_e32 v4, v4, v30
	v_cmp_le_u32_e64 s[28:29], s48, v4
	v_addc_co_u32_e64 v4, s[28:29], 0, v19, s[28:29]
	v_sub_u32_e32 v19, 0, v4
	v_cmp_lt_i16_sdwa s[28:29], sext(v5), v2 src0_sel:BYTE_0 src1_sel:DWORD
	v_cndmask_b32_e32 v4, v4, v19, vcc
	s_and_b64 vcc, s[90:91], s[28:29]
	v_sub_u16_e32 v19, 0, v5
	v_cndmask_b32_e32 v5, v5, v19, vcc
	v_and_b32_e32 v5, 0xff, v5
	v_mul_hi_u32 v19, v5, s94
	v_mul_lo_u32 v30, s48, v19
	v_sub_u32_e32 v5, v5, v30
	v_cmp_le_u32_e64 s[28:29], s48, v5
	v_addc_co_u32_e64 v5, s[28:29], 0, v19, s[28:29]
	v_sub_u32_e32 v19, 0, v5
	v_cmp_lt_i16_sdwa s[28:29], sext(v6), v2 src0_sel:BYTE_0 src1_sel:DWORD
	v_cndmask_b32_e32 v5, v5, v19, vcc
	s_and_b64 vcc, s[90:91], s[28:29]
	v_sub_u16_e32 v19, 0, v6
	v_cndmask_b32_e32 v6, v6, v19, vcc
	v_and_b32_e32 v6, 0xff, v6
	v_mul_hi_u32 v19, v6, s94
	;; [unrolled: 12-line block ×6, first 2 shown]
	v_mul_lo_u32 v30, s48, v19
	v_sub_u32_e32 v18, v18, v30
	v_cmp_le_u32_e64 s[28:29], s48, v18
	v_addc_co_u32_e64 v18, s[28:29], 0, v19, s[28:29]
	v_sub_u32_e32 v19, 0, v18
	v_cndmask_b32_e32 v18, v18, v19, vcc
	v_add_co_u32_e32 v8, vcc, v8, v15
	v_addc_co_u32_e32 v9, vcc, 0, v9, vcc
	v_add_co_u32_e32 v10, vcc, v10, v15
	v_addc_co_u32_e32 v11, vcc, 0, v11, vcc
	flat_store_byte v[42:43], v3 glc slc
	flat_store_byte v[42:43], v4 offset:64 glc slc
	flat_store_byte v[42:43], v5 offset:128 glc slc
	;; [unrolled: 1-line block ×7, first 2 shown]
	flat_store_byte v[44:45], v3 glc slc
	flat_store_byte v[44:45], v4 offset:64 glc slc
	flat_store_byte v[44:45], v5 offset:128 glc slc
	;; [unrolled: 1-line block ×7, first 2 shown]
	v_add_co_u32_e32 v42, vcc, v42, v15
	v_addc_co_u32_e32 v43, vcc, 0, v43, vcc
	v_add_co_u32_e32 v44, vcc, v44, v15
	v_addc_co_u32_e32 v45, vcc, 0, v45, vcc
	v_cmp_gt_i32_e32 vcc, 1, v52
	s_or_b64 s[92:93], vcc, s[92:93]
	s_andn2_b64 exec, exec, s[92:93]
	s_cbranch_execnz .LBB2_587
; %bb.588:                              ;   in Loop: Header=BB2_491 Depth=2
	s_or_b64 exec, exec, s[92:93]
	buffer_load_dword v34, off, s[0:3], s33 offset:76 ; 4-byte Folded Reload
	buffer_load_dword v35, off, s[0:3], s33 offset:80 ; 4-byte Folded Reload
	;; [unrolled: 1-line block ×9, first 2 shown]
	v_mov_b32_e32 v16, v40
	v_mov_b32_e32 v19, 0x90
	;; [unrolled: 1-line block ×3, first 2 shown]
.LBB2_589:                              ;   in Loop: Header=BB2_491 Depth=2
	s_or_b64 exec, exec, s[40:41]
	v_lshlrev_b32_e32 v3, 9, v59
	v_cmp_ne_u32_e32 vcc, v48, v3
	s_and_b64 s[28:29], exec, vcc
	v_ashrrev_i32_e32 v59, 31, v56
	s_mov_b64 exec, s[28:29]
	s_cbranch_execz .LBB2_595
; %bb.590:                              ;   in Loop: Header=BB2_491 Depth=2
	v_lshlrev_b32_e32 v4, 6, v51
	v_sub_u32_e32 v4, v49, v4
	v_lshlrev_b32_e32 v5, 6, v52
	v_sub_u32_e32 v4, v4, v5
	v_add_u32_e32 v8, v3, v4
	v_sub_u32_e32 v3, v48, v8
	v_cmp_lt_i32_e32 vcc, 0, v3
	s_and_b64 exec, exec, vcc
	s_cbranch_execz .LBB2_595
; %bb.591:                              ;   in Loop: Header=BB2_491 Depth=2
	v_cvt_f32_u32_e32 v4, s48
	s_sub_i32 s28, 0, s48
	v_add_u32_e32 v1, v8, v1
	s_trap 2
	v_rcp_iflag_f32_e32 v4, v4
	ds_read_b128 v[8:11], v0
	v_ashrrev_i32_e32 v5, 31, v1
	s_mov_b64 s[92:93], 0
	v_mul_f32_e32 v4, 0x4f7ffffe, v4
	v_cvt_u32_f32_e32 v4, v4
	s_waitcnt lgkmcnt(0)
	v_add_co_u32_e32 v8, vcc, v8, v1
	v_addc_co_u32_e32 v9, vcc, v9, v5, vcc
	v_readfirstlane_b32 s29, v4
	s_mul_i32 s28, s28, s29
	s_mul_hi_u32 s28, s29, s28
	s_add_i32 s29, s29, s28
	s_mul_hi_u32 s28, s29, -1
	s_mul_i32 s29, s28, s48
	s_not_b32 s29, s29
	s_add_i32 s40, s28, 1
	s_sub_i32 s41, s29, s48
	s_cmp_ge_u32 s29, s48
	s_cselect_b32 s28, s40, s28
	s_cselect_b32 s29, s41, s29
	s_add_i32 s40, s28, 1
	v_add_co_u32_e32 v10, vcc, v10, v1
	s_cmp_ge_u32 s29, s48
	v_addc_co_u32_e32 v11, vcc, v11, v5, vcc
	s_cselect_b32 s34, s40, s28
	s_cmp_lt_i32 s49, 0
	v_mov_b32_e32 v42, v9
	v_mov_b32_e32 v44, v11
	s_cselect_b64 s[90:91], -1, 0
	v_mov_b32_e32 v41, v8
	v_mov_b32_e32 v43, v10
.LBB2_592:                              ;   Parent Loop BB2_47 Depth=1
                                        ;     Parent Loop BB2_491 Depth=2
                                        ; =>    This Loop Header: Depth=3
                                        ;         Child Loop BB2_593 Depth 4
	flat_load_ubyte v1, v[41:42] glc slc
	flat_load_ubyte v4, v[43:44] glc slc
	s_mov_b64 s[94:95], -1
	s_mov_b64 s[30:31], 0
	s_waitcnt vmcnt(0) lgkmcnt(0)
	v_add_u16_e32 v1, v4, v1
	v_cmp_lt_i16_sdwa s[28:29], sext(v1), v2 src0_sel:BYTE_0 src1_sel:DWORD
	s_and_b64 vcc, s[90:91], s[28:29]
	v_sub_u16_e32 v4, 0, v1
	v_cndmask_b32_e32 v1, v1, v4, vcc
	v_and_b32_e32 v1, 0xff, v1
	v_mul_hi_u32 v4, v1, s34
	v_mul_lo_u32 v5, s48, v4
	v_sub_u32_e32 v1, v1, v5
	v_cmp_le_u32_e64 s[28:29], s48, v1
	v_addc_co_u32_e64 v1, s[28:29], 0, v4, s[28:29]
	v_sub_u32_e32 v4, 0, v1
	v_cndmask_b32_e32 v1, v1, v4, vcc
.LBB2_593:                              ;   Parent Loop BB2_47 Depth=1
                                        ;     Parent Loop BB2_491 Depth=2
                                        ;       Parent Loop BB2_592 Depth=3
                                        ; =>      This Inner Loop Header: Depth=4
	s_cmp_eq_u32 s30, 1
	s_cselect_b64 vcc, -1, 0
	v_cndmask_b32_e32 v5, v9, v11, vcc
	v_cndmask_b32_e32 v4, v8, v10, vcc
	flat_store_byte v[4:5], v1 glc slc
	v_add_co_u32_e64 v4, s[28:29], 64, v4
	s_cmp_eq_u32 s30, 0
	v_addc_co_u32_e64 v5, s[28:29], 0, v5, s[28:29]
	s_cselect_b64 s[28:29], -1, 0
	s_and_b64 s[40:41], exec, s[94:95]
	s_mov_b64 s[30:31], 1
	s_mov_b64 s[94:95], 0
	v_cndmask_b32_e32 v11, v11, v5, vcc
	v_cndmask_b32_e32 v10, v10, v4, vcc
	v_cndmask_b32_e64 v9, v9, v5, s[28:29]
	v_cndmask_b32_e64 v8, v8, v4, s[28:29]
	s_mov_b64 vcc, s[40:41]
	s_cbranch_vccnz .LBB2_593
; %bb.594:                              ;   in Loop: Header=BB2_592 Depth=3
	buffer_load_dword v1, off, s[0:3], s33 offset:64 ; 4-byte Folded Reload
	buffer_load_dword v4, off, s[0:3], s33 offset:60 ; 4-byte Folded Reload
	v_sub_u32_e32 v3, v3, v60
	s_waitcnt vmcnt(0)
	v_add_co_u32_e32 v41, vcc, v41, v1
	v_addc_co_u32_e32 v42, vcc, v42, v32, vcc
	v_add_co_u32_e32 v43, vcc, v43, v1
	v_addc_co_u32_e32 v44, vcc, v44, v32, vcc
	v_subrev_u32_e32 v1, 64, v60
	v_add_co_u32_e32 v8, vcc, v8, v1
	v_addc_co_u32_e32 v9, vcc, v9, v4, vcc
	v_cmp_gt_i32_e32 vcc, 1, v3
	s_or_b64 s[92:93], vcc, s[92:93]
	v_add_co_u32_e32 v10, vcc, v10, v1
	v_addc_co_u32_e32 v11, vcc, v11, v4, vcc
	s_andn2_b64 exec, exec, s[92:93]
	s_cbranch_execnz .LBB2_592
.LBB2_595:                              ;   in Loop: Header=BB2_491 Depth=2
	s_or_b64 exec, exec, s[42:43]
	buffer_load_dword v8, off, s[0:3], s33 offset:128 ; 4-byte Folded Reload
	buffer_load_dword v9, off, s[0:3], s33 offset:132 ; 4-byte Folded Reload
	s_mov_b64 s[28:29], 0
	v_mov_b32_e32 v43, 0xc8
	v_mov_b32_e32 v42, 0xd0
	v_lshlrev_b32_e32 v49, 11, v57
.LBB2_596:                              ;   in Loop: Header=BB2_491 Depth=2
	s_and_b64 vcc, exec, s[28:29]
	s_cbranch_vccz .LBB2_614
; %bb.597:                              ;   in Loop: Header=BB2_491 Depth=2
	s_mov_b64 s[28:29], -1
	s_and_saveexec_b64 s[40:41], s[22:23]
	s_cbranch_execz .LBB2_599
; %bb.598:                              ;   in Loop: Header=BB2_491 Depth=2
	ds_read_b32 v1, v0 offset:720
	s_waitcnt lgkmcnt(0)
	v_and_b32_e32 v1, 15, v1
	v_cmp_eq_u32_e32 vcc, 0, v1
	s_orn2_b64 s[28:29], vcc, exec
.LBB2_599:                              ;   in Loop: Header=BB2_491 Depth=2
	s_or_b64 exec, exec, s[40:41]
	s_and_saveexec_b64 s[40:41], s[18:19]
	s_cbranch_execz .LBB2_601
; %bb.600:                              ;   in Loop: Header=BB2_491 Depth=2
	ds_read_b32 v1, v0 offset:784
	s_waitcnt lgkmcnt(0)
	v_and_b32_e32 v1, 15, v1
	v_cmp_eq_u32_e32 vcc, 0, v1
	s_and_b64 s[42:43], s[28:29], vcc
	s_andn2_b64 s[28:29], s[28:29], exec
	s_and_b64 s[42:43], s[42:43], exec
	s_or_b64 s[28:29], s[28:29], s[42:43]
.LBB2_601:                              ;   in Loop: Header=BB2_491 Depth=2
	s_or_b64 exec, exec, s[40:41]
	s_xor_b64 s[28:29], s[28:29], -1
	v_cndmask_b32_e64 v1, 0, 1, s[28:29]
	s_mov_b64 s[40:41], -1
	v_cmp_ne_u32_e32 vcc, 0, v1
	s_waitcnt vmcnt(0)
	v_alignbit_b32 v3, v8, v8, 1
	s_cbranch_vccz .LBB2_615
; %bb.602:                              ;   in Loop: Header=BB2_491 Depth=2
	v_readfirstlane_b32 s28, v3
	v_readfirstlane_b32 s35, v3
	s_and_b32 s34, s28, 0x7fffffff
	s_mov_b64 s[42:43], -1
	v_mov_b32_e32 v1, 0
	s_cbranch_execnz .LBB2_616
.LBB2_603:                              ;   in Loop: Header=BB2_491 Depth=2
	v_ashrrev_i32_e32 v1, 31, v7
	v_lshrrev_b32_e32 v1, 22, v1
	v_add_u32_e32 v1, v7, v1
	v_ashrrev_i32_e32 v4, 10, v1
	v_and_b32_e32 v5, 0xfffffc00, v1
	buffer_load_dword v1, off, s[0:3], s33 offset:92 ; 4-byte Folded Reload
	v_sub_u32_e32 v8, v7, v5
	v_readfirstlane_b32 s28, v3
	v_cmp_lt_i32_e32 vcc, 15, v8
	v_sub_u32_e32 v59, v7, v46
	s_and_b32 s34, s28, 0x7fffffff
	v_readfirstlane_b32 s35, v3
	s_waitcnt vmcnt(0)
	v_sub_u32_e32 v1, v4, v1
	v_addc_co_u32_e64 v61, s[28:29], 0, v1, vcc
	v_cmp_lt_i32_e64 s[28:29], 15, v59
	s_and_saveexec_b64 s[90:91], s[28:29]
	s_cbranch_execz .LBB2_607
; %bb.604:                              ;   in Loop: Header=BB2_491 Depth=2
	v_cvt_f32_u32_e32 v1, s34
	v_add_co_u32_e64 v40, s[28:29], v30, v46
	v_addc_co_u32_e64 v41, s[28:29], 0, v31, s[28:29]
	v_rcp_iflag_f32_e32 v1, v1
	s_sub_i32 s40, 0, s34
	buffer_store_dword v8, off, s[0:3], s33 offset:144 ; 4-byte Folded Spill
	buffer_store_dword v5, off, s[0:3], s33 offset:128 ; 4-byte Folded Spill
	;; [unrolled: 1-line block ×3, first 2 shown]
	s_trap 2
	v_mul_f32_e32 v1, 0x4f7ffffe, v1
	v_cvt_u32_f32_e32 v1, v1
	ds_read_b64 v[3:4], v0
	v_mov_b32_e32 v49, v31
	v_mov_b32_e32 v52, v17
	v_readfirstlane_b32 s28, v1
	s_mul_i32 s40, s40, s28
	s_mul_hi_u32 s29, s28, s40
	s_add_i32 s28, s28, s29
	s_mul_hi_u32 s28, s28, -1
	s_mul_i32 s29, s28, s34
	s_not_b32 s29, s29
	s_add_i32 s40, s28, 1
	s_sub_i32 s41, s29, s34
	s_cmp_ge_u32 s29, s34
	s_cselect_b32 s28, s40, s28
	s_cselect_b32 s29, s41, s29
	s_add_i32 s40, s28, 1
	s_cmp_ge_u32 s29, s34
	s_cselect_b32 s30, s40, s28
	s_waitcnt lgkmcnt(0)
	v_add_co_u32_e64 v42, s[28:29], v3, v46
	v_addc_co_u32_e64 v43, s[28:29], 0, v4, s[28:29]
	v_add_co_u32_e64 v44, s[28:29], v16, v46
	s_cmp_lt_i32 s35, 0
	v_mov_b32_e32 v48, v30
	v_mov_b32_e32 v51, v16
	v_addc_co_u32_e64 v45, s[28:29], 0, v17, s[28:29]
	s_cselect_b64 s[92:93], -1, 0
	s_mov_b64 s[94:95], 0
.LBB2_605:                              ;   Parent Loop BB2_47 Depth=1
                                        ;     Parent Loop BB2_491 Depth=2
                                        ; =>    This Inner Loop Header: Depth=3
	global_load_dwordx4 v[16:19], v[40:41], off glc slc
	global_load_dwordx4 v[8:11], v[42:43], off glc slc
	v_sub_u32_e32 v59, v59, v14
	v_sub_u32_e32 v61, v61, v57
	s_waitcnt vmcnt(0)
	v_and_b32_e32 v1, 0xff00ff, v8
	v_and_b32_e32 v6, 0xff00ff, v10
	;; [unrolled: 1-line block ×5, first 2 shown]
	v_add_u32_e32 v30, v1, v10
	v_and_b32_e32 v1, 0xff00ff00, v16
	v_and_b32_e32 v4, 0xff00ff, v9
	v_add_u32_e32 v31, v3, v1
	v_and_b32_e32 v1, 0xff00ff, v17
	v_and_b32_e32 v5, 0xff00ff00, v9
	v_add_u32_e32 v4, v4, v1
	v_and_b32_e32 v1, 0xff00ff00, v17
	v_add_u32_e32 v5, v5, v1
	v_and_b32_e32 v1, 0xff00ff, v18
	v_cmp_lt_i16_sdwa s[28:29], sext(v30), v2 src0_sel:BYTE_0 src1_sel:DWORD
	v_add_u32_e32 v17, v6, v1
	s_and_b64 s[28:29], s[92:93], s[28:29]
	v_sub_u16_e32 v6, 0, v30
	v_cndmask_b32_e64 v6, v30, v6, s[28:29]
	v_and_b32_e32 v1, 0xff00ff00, v18
	v_and_b32_e32 v6, 0xff, v6
	v_add_u32_e32 v10, v7, v1
	v_mul_hi_u32 v7, v6, s30
	v_and_b32_e32 v8, 0xff00ff, v11
	v_and_b32_e32 v1, 0xff00ff, v19
	;; [unrolled: 1-line block ×3, first 2 shown]
	v_add_u32_e32 v11, v8, v1
	v_mul_lo_u32 v8, s34, v7
	v_perm_b32 v34, v31, v30, s64
	v_and_b32_e32 v1, 0xff00ff00, v19
	v_add_u32_e32 v1, v9, v1
	v_sub_u32_e32 v6, v6, v8
	v_cmp_le_u32_e64 s[40:41], s34, v6
	v_addc_co_u32_e64 v6, s[40:41], 0, v7, s[40:41]
	v_sub_u32_e32 v7, 0, v6
	v_and_b32_e32 v8, 0x8000, v34
	v_cndmask_b32_e64 v6, v6, v7, s[28:29]
	v_lshrrev_b32_e32 v7, 8, v31
	v_cmp_ne_u32_e64 s[28:29], 0, v8
	s_and_b64 s[28:29], s[92:93], s[28:29]
	v_sub_u16_e32 v8, 0, v7
	v_cndmask_b32_e64 v7, v7, v8, s[28:29]
	v_and_b32_e32 v7, 0xff, v7
	v_mul_hi_u32 v8, v7, s30
	v_perm_b32 v35, v5, v4, s64
	v_perm_b32 v16, v10, v17, s64
	;; [unrolled: 1-line block ×3, first 2 shown]
	v_mul_lo_u32 v9, s34, v8
	v_sub_u32_e32 v7, v7, v9
	v_cmp_le_u32_e64 s[40:41], s34, v7
	v_addc_co_u32_e64 v7, s[40:41], 0, v8, s[40:41]
	v_sub_u32_e32 v8, 0, v7
	v_cndmask_b32_e64 v7, v7, v8, s[28:29]
	v_lshrrev_b32_e32 v8, 16, v30
	v_cmp_lt_i16_sdwa s[28:29], sext(v8), v2 src0_sel:BYTE_0 src1_sel:DWORD
	s_and_b64 s[28:29], s[92:93], s[28:29]
	v_sub_u16_e32 v9, 0, v8
	v_cndmask_b32_e64 v8, v8, v9, s[28:29]
	v_and_b32_e32 v8, 0xff, v8
	v_mul_hi_u32 v9, v8, s30
	v_lshlrev_b32_e32 v7, 8, v7
	v_perm_b32 v6, v7, v6, s71
	v_mul_lo_u32 v18, s34, v9
	v_sub_u32_e32 v8, v8, v18
	v_cmp_le_u32_e64 s[40:41], s34, v8
	v_addc_co_u32_e64 v8, s[40:41], 0, v9, s[40:41]
	v_sub_u32_e32 v9, 0, v8
	v_cndmask_b32_e64 v8, v8, v9, s[28:29]
	v_lshrrev_b32_e32 v9, 24, v31
	v_and_b32_e32 v18, s35, v34
	v_cmp_lt_i32_e64 s[28:29], -1, v18
	v_sub_u16_e32 v18, 0, v9
	v_cndmask_b32_e64 v9, v18, v9, s[28:29]
	v_and_b32_e32 v9, 0xff, v9
	v_mul_hi_u32 v18, v9, s30
	v_and_b32_e32 v8, 0xff, v8
	v_lshlrev_b32_e32 v8, 16, v8
	v_mul_lo_u32 v19, s34, v18
	v_sub_u32_e32 v9, v9, v19
	v_cmp_le_u32_e64 s[40:41], s34, v9
	v_addc_co_u32_e64 v9, s[40:41], 0, v18, s[40:41]
	v_sub_u32_e32 v18, 0, v9
	v_cndmask_b32_e64 v9, v18, v9, s[28:29]
	v_lshlrev_b32_e32 v9, 24, v9
	v_cmp_lt_i16_sdwa s[28:29], sext(v4), v2 src0_sel:BYTE_0 src1_sel:DWORD
	v_or3_b32 v8, v9, v8, v6
	s_and_b64 s[28:29], s[92:93], s[28:29]
	v_sub_u16_e32 v6, 0, v4
	v_cndmask_b32_e64 v6, v4, v6, s[28:29]
	v_and_b32_e32 v6, 0xff, v6
	v_mul_hi_u32 v7, v6, s30
	v_lshrrev_b32_e32 v4, 16, v4
	v_mul_lo_u32 v9, s34, v7
	v_sub_u32_e32 v6, v6, v9
	v_cmp_le_u32_e64 s[40:41], s34, v6
	v_addc_co_u32_e64 v6, s[40:41], 0, v7, s[40:41]
	v_sub_u32_e32 v7, 0, v6
	v_and_b32_e32 v9, 0x8000, v35
	v_cndmask_b32_e64 v6, v6, v7, s[28:29]
	v_lshrrev_b32_e32 v7, 8, v5
	v_cmp_ne_u32_e64 s[28:29], 0, v9
	s_and_b64 s[28:29], s[92:93], s[28:29]
	v_sub_u16_e32 v9, 0, v7
	v_cndmask_b32_e64 v7, v7, v9, s[28:29]
	v_and_b32_e32 v7, 0xff, v7
	v_mul_hi_u32 v9, v7, s30
	v_lshrrev_b32_e32 v5, 24, v5
	v_mul_lo_u32 v18, s34, v9
	v_sub_u32_e32 v7, v7, v18
	v_cmp_le_u32_e64 s[40:41], s34, v7
	v_addc_co_u32_e64 v7, s[40:41], 0, v9, s[40:41]
	v_sub_u32_e32 v9, 0, v7
	v_cndmask_b32_e64 v7, v7, v9, s[28:29]
	v_cmp_lt_i16_sdwa s[28:29], sext(v4), v2 src0_sel:BYTE_0 src1_sel:DWORD
	s_and_b64 s[28:29], s[92:93], s[28:29]
	v_sub_u16_e32 v9, 0, v4
	v_cndmask_b32_e64 v4, v4, v9, s[28:29]
	v_and_b32_e32 v4, 0xff, v4
	v_mul_hi_u32 v9, v4, s30
	v_lshlrev_b32_e32 v7, 8, v7
	v_perm_b32 v6, v7, v6, s71
	v_mul_lo_u32 v18, s34, v9
	v_sub_u32_e32 v4, v4, v18
	v_cmp_le_u32_e64 s[40:41], s34, v4
	v_addc_co_u32_e64 v4, s[40:41], 0, v9, s[40:41]
	v_sub_u32_e32 v9, 0, v4
	v_cndmask_b32_e64 v4, v4, v9, s[28:29]
	v_and_b32_e32 v9, s35, v35
	v_cmp_lt_i32_e64 s[28:29], -1, v9
	v_sub_u16_e32 v9, 0, v5
	v_cndmask_b32_e64 v5, v9, v5, s[28:29]
	v_and_b32_e32 v5, 0xff, v5
	v_mul_hi_u32 v9, v5, s30
	v_and_b32_e32 v4, 0xff, v4
	v_lshlrev_b32_e32 v4, 16, v4
	v_mul_lo_u32 v18, s34, v9
	v_sub_u32_e32 v5, v5, v18
	v_cmp_le_u32_e64 s[40:41], s34, v5
	v_addc_co_u32_e64 v5, s[40:41], 0, v9, s[40:41]
	v_sub_u32_e32 v9, 0, v5
	v_cndmask_b32_e64 v5, v9, v5, s[28:29]
	v_lshlrev_b32_e32 v5, 24, v5
	v_cmp_lt_i16_sdwa s[28:29], sext(v17), v2 src0_sel:BYTE_0 src1_sel:DWORD
	v_or3_b32 v9, v5, v4, v6
	s_and_b64 s[28:29], s[92:93], s[28:29]
	v_sub_u16_e32 v4, 0, v17
	v_cndmask_b32_e64 v4, v17, v4, s[28:29]
	v_and_b32_e32 v4, 0xff, v4
	v_mul_hi_u32 v5, v4, s30
	v_mul_lo_u32 v6, s34, v5
	v_sub_u32_e32 v4, v4, v6
	v_cmp_le_u32_e64 s[40:41], s34, v4
	v_addc_co_u32_e64 v4, s[40:41], 0, v5, s[40:41]
	v_sub_u32_e32 v5, 0, v4
	v_and_b32_e32 v6, 0x8000, v16
	v_cndmask_b32_e64 v4, v4, v5, s[28:29]
	v_lshrrev_b32_e32 v5, 8, v10
	v_cmp_ne_u32_e64 s[28:29], 0, v6
	s_and_b64 s[28:29], s[92:93], s[28:29]
	v_sub_u16_e32 v6, 0, v5
	v_cndmask_b32_e64 v5, v5, v6, s[28:29]
	v_and_b32_e32 v5, 0xff, v5
	v_mul_hi_u32 v6, v5, s30
	v_mul_lo_u32 v7, s34, v6
	v_sub_u32_e32 v5, v5, v7
	v_cmp_le_u32_e64 s[40:41], s34, v5
	v_addc_co_u32_e64 v5, s[40:41], 0, v6, s[40:41]
	v_sub_u32_e32 v6, 0, v5
	v_cndmask_b32_e64 v5, v5, v6, s[28:29]
	v_lshrrev_b32_e32 v6, 16, v17
	v_cmp_lt_i16_sdwa s[28:29], sext(v6), v2 src0_sel:BYTE_0 src1_sel:DWORD
	s_and_b64 s[28:29], s[92:93], s[28:29]
	v_sub_u16_e32 v7, 0, v6
	v_cndmask_b32_e64 v6, v6, v7, s[28:29]
	v_and_b32_e32 v6, 0xff, v6
	v_mul_hi_u32 v7, v6, s30
	v_lshlrev_b32_e32 v5, 8, v5
	v_perm_b32 v4, v5, v4, s71
	v_mul_lo_u32 v17, s34, v7
	v_sub_u32_e32 v6, v6, v17
	v_cmp_le_u32_e64 s[40:41], s34, v6
	v_addc_co_u32_e64 v6, s[40:41], 0, v7, s[40:41]
	v_sub_u32_e32 v7, 0, v6
	v_cndmask_b32_e64 v6, v6, v7, s[28:29]
	v_lshrrev_b32_e32 v7, 24, v10
	v_and_b32_e32 v10, s35, v16
	v_cmp_lt_i32_e64 s[28:29], -1, v10
	v_sub_u16_e32 v10, 0, v7
	v_cndmask_b32_e64 v7, v10, v7, s[28:29]
	v_and_b32_e32 v7, 0xff, v7
	v_mul_hi_u32 v10, v7, s30
	v_and_b32_e32 v6, 0xff, v6
	v_lshlrev_b32_e32 v6, 16, v6
	v_mul_lo_u32 v16, s34, v10
	v_sub_u32_e32 v7, v7, v16
	v_cmp_le_u32_e64 s[40:41], s34, v7
	v_addc_co_u32_e64 v7, s[40:41], 0, v10, s[40:41]
	v_sub_u32_e32 v10, 0, v7
	v_cndmask_b32_e64 v7, v10, v7, s[28:29]
	v_lshlrev_b32_e32 v7, 24, v7
	v_cmp_lt_i16_sdwa s[28:29], sext(v11), v2 src0_sel:BYTE_0 src1_sel:DWORD
	v_or3_b32 v10, v7, v6, v4
	s_and_b64 s[28:29], s[92:93], s[28:29]
	v_sub_u16_e32 v4, 0, v11
	v_cndmask_b32_e64 v4, v11, v4, s[28:29]
	v_and_b32_e32 v4, 0xff, v4
	v_mul_hi_u32 v5, v4, s30
	v_mul_lo_u32 v6, s34, v5
	v_sub_u32_e32 v4, v4, v6
	v_cmp_le_u32_e64 s[40:41], s34, v4
	v_addc_co_u32_e64 v4, s[40:41], 0, v5, s[40:41]
	v_sub_u32_e32 v5, 0, v4
	v_and_b32_e32 v6, 0x8000, v3
	v_cndmask_b32_e64 v4, v4, v5, s[28:29]
	v_lshrrev_b32_e32 v5, 8, v1
	v_cmp_ne_u32_e64 s[28:29], 0, v6
	s_and_b64 s[28:29], s[92:93], s[28:29]
	v_sub_u16_e32 v6, 0, v5
	v_cndmask_b32_e64 v5, v5, v6, s[28:29]
	v_and_b32_e32 v5, 0xff, v5
	v_mul_hi_u32 v6, v5, s30
	v_lshrrev_b32_e32 v1, 24, v1
	v_and_b32_e32 v3, s35, v3
	v_mul_lo_u32 v7, s34, v6
	v_sub_u32_e32 v5, v5, v7
	v_cmp_le_u32_e64 s[40:41], s34, v5
	v_addc_co_u32_e64 v5, s[40:41], 0, v6, s[40:41]
	v_sub_u32_e32 v6, 0, v5
	v_cndmask_b32_e64 v5, v5, v6, s[28:29]
	v_lshrrev_b32_e32 v6, 16, v11
	v_cmp_lt_i16_sdwa s[28:29], sext(v6), v2 src0_sel:BYTE_0 src1_sel:DWORD
	s_and_b64 s[28:29], s[92:93], s[28:29]
	v_sub_u16_e32 v7, 0, v6
	v_cndmask_b32_e64 v6, v6, v7, s[28:29]
	v_and_b32_e32 v6, 0xff, v6
	v_mul_hi_u32 v7, v6, s30
	v_lshlrev_b32_e32 v5, 8, v5
	v_perm_b32 v4, v5, v4, s71
	v_mul_lo_u32 v11, s34, v7
	v_sub_u32_e32 v6, v6, v11
	v_cmp_le_u32_e64 s[40:41], s34, v6
	v_addc_co_u32_e64 v6, s[40:41], 0, v7, s[40:41]
	v_sub_u32_e32 v7, 0, v6
	v_cndmask_b32_e64 v6, v6, v7, s[28:29]
	v_cmp_lt_i32_e64 s[28:29], -1, v3
	v_sub_u16_e32 v3, 0, v1
	v_cndmask_b32_e64 v1, v3, v1, s[28:29]
	v_and_b32_e32 v1, 0xff, v1
	v_mul_hi_u32 v3, v1, s30
	v_and_b32_e32 v6, 0xff, v6
	v_mul_lo_u32 v7, s34, v3
	v_sub_u32_e32 v1, v1, v7
	v_cmp_le_u32_e64 s[40:41], s34, v1
	v_addc_co_u32_e64 v1, s[40:41], 0, v3, s[40:41]
	v_sub_u32_e32 v3, 0, v1
	v_cndmask_b32_e64 v1, v3, v1, s[28:29]
	v_add_co_u32_e64 v40, s[28:29], v40, v14
	v_addc_co_u32_e64 v41, s[28:29], 0, v41, s[28:29]
	v_lshlrev_b32_e32 v3, 16, v6
	v_lshlrev_b32_e32 v1, 24, v1
	v_add_co_u32_e64 v42, s[28:29], v42, v14
	v_or3_b32 v11, v1, v3, v4
	v_addc_co_u32_e64 v43, s[28:29], 0, v43, s[28:29]
	global_store_dwordx4 v[44:45], v[8:11], off glc slc
	v_add_co_u32_e64 v44, s[28:29], v44, v14
	v_addc_co_u32_e64 v45, s[28:29], 0, v45, s[28:29]
	v_cmp_gt_i32_e64 s[28:29], 16, v59
	s_or_b64 s[94:95], s[28:29], s[94:95]
	s_andn2_b64 exec, exec, s[94:95]
	s_cbranch_execnz .LBB2_605
; %bb.606:                              ;   in Loop: Header=BB2_491 Depth=2
	s_or_b64 exec, exec, s[94:95]
	buffer_load_dword v34, off, s[0:3], s33 offset:76 ; 4-byte Folded Reload
	buffer_load_dword v35, off, s[0:3], s33 offset:80 ; 4-byte Folded Reload
	;; [unrolled: 1-line block ×8, first 2 shown]
	v_mov_b32_e32 v16, v51
	v_mov_b32_e32 v30, v48
	;; [unrolled: 1-line block ×7, first 2 shown]
.LBB2_607:                              ;   in Loop: Header=BB2_491 Depth=2
	s_or_b64 exec, exec, s[90:91]
	s_waitcnt vmcnt(0)
	v_and_b32_e32 v3, 15, v7
	v_cndmask_b32_e32 v6, v8, v3, vcc
	v_cmp_ne_u32_e64 s[28:29], 0, v6
                                        ; implicit-def: $vgpr48
                                        ; implicit-def: $vgpr1
                                        ; implicit-def: $vgpr49
	s_and_saveexec_b64 s[90:91], s[28:29]
	s_cbranch_execz .LBB2_613
; %bb.608:                              ;   in Loop: Header=BB2_491 Depth=2
	v_sub_u32_e32 v1, v8, v3
	v_cndmask_b32_e32 v1, 0, v1, vcc
	v_cmp_lt_i32_e32 vcc, 0, v61
	v_add_u32_e32 v8, v1, v5
	v_cndmask_b32_e32 v1, 0, v57, vcc
	v_sub_u32_e32 v1, v1, v61
	v_lshl_or_b32 v1, v1, 6, v58
	v_ashrrev_i32_e32 v3, 31, v1
	v_lshrrev_b32_e32 v3, 26, v3
	v_add_u32_e32 v3, v1, v3
	v_ashrrev_i32_e32 v4, 6, v3
	v_and_b32_e32 v3, 0xffffffc0, v3
	v_sub_u32_e32 v9, v1, v3
	v_ashrrev_i32_e32 v3, 31, v6
	v_lshrrev_b32_e32 v3, 22, v3
	v_add_u32_e32 v3, v6, v3
	v_and_b32_e32 v10, 0xfffffc00, v3
	v_lshlrev_b32_e32 v1, 4, v9
	v_sub_u32_e32 v11, v6, v10
	v_lshl_add_u32 v1, v4, 10, v1
	v_ashrrev_i32_e32 v5, 10, v3
	v_cmp_lt_i32_e32 vcc, 15, v11
	v_sub_u32_e32 v61, v6, v1
	v_addc_co_u32_e64 v3, s[28:29], 0, v5, vcc
	v_sub_u32_e32 v59, v3, v4
	v_cmp_lt_i32_e64 s[28:29], 15, v61
	s_and_saveexec_b64 s[92:93], s[28:29]
	s_cbranch_execz .LBB2_612
; %bb.609:                              ;   in Loop: Header=BB2_491 Depth=2
	v_cvt_f32_u32_e32 v3, s34
	s_sub_i32 s28, 0, s34
	buffer_store_dword v11, off, s[0:3], s33 offset:216 ; 4-byte Folded Spill
	buffer_store_dword v10, off, s[0:3], s33 offset:180 ; 4-byte Folded Spill
	;; [unrolled: 1-line block ×6, first 2 shown]
	v_rcp_iflag_f32_e32 v3, v3
	s_trap 2
	v_add_u32_e32 v1, v1, v8
	v_ashrrev_i32_e32 v6, 31, v1
	v_mul_f32_e32 v3, 0x4f7ffffe, v3
	v_cvt_u32_f32_e32 v5, v3
	ds_read_b64 v[3:4], v0
	v_mov_b32_e32 v49, v31
	v_mov_b32_e32 v52, v17
	v_readfirstlane_b32 s29, v5
	s_mul_i32 s28, s28, s29
	s_mul_hi_u32 s28, s29, s28
	s_add_i32 s29, s29, s28
	s_mul_hi_u32 s28, s29, -1
	s_mul_i32 s29, s28, s34
	s_not_b32 s29, s29
	s_add_i32 s40, s28, 1
	s_sub_i32 s41, s29, s34
	s_cmp_ge_u32 s29, s34
	s_cselect_b32 s28, s40, s28
	s_cselect_b32 s29, s41, s29
	s_add_i32 s40, s28, 1
	s_cmp_ge_u32 s29, s34
	s_cselect_b32 s36, s40, s28
	v_add_co_u32_e64 v40, s[28:29], v1, v30
	v_addc_co_u32_e64 v41, s[28:29], v6, v31, s[28:29]
	s_waitcnt lgkmcnt(0)
	v_add_co_u32_e64 v42, s[28:29], v3, v1
	v_addc_co_u32_e64 v43, s[28:29], v4, v6, s[28:29]
	v_add_co_u32_e64 v44, s[28:29], v1, v16
	s_cmp_lt_i32 s35, 0
	v_mov_b32_e32 v48, v30
	v_mov_b32_e32 v51, v16
	v_addc_co_u32_e64 v45, s[28:29], v6, v17, s[28:29]
	s_cselect_b64 s[94:95], -1, 0
	s_mov_b64 s[30:31], 0
.LBB2_610:                              ;   Parent Loop BB2_47 Depth=1
                                        ;     Parent Loop BB2_491 Depth=2
                                        ; =>    This Inner Loop Header: Depth=3
	global_load_dwordx4 v[16:19], v[40:41], off glc slc
	global_load_dwordx4 v[8:11], v[42:43], off glc slc
	v_sub_u32_e32 v61, v61, v14
	v_sub_u32_e32 v59, v59, v57
	s_waitcnt vmcnt(0)
	v_and_b32_e32 v1, 0xff00ff, v8
	v_and_b32_e32 v6, 0xff00ff, v10
	;; [unrolled: 1-line block ×5, first 2 shown]
	v_add_u32_e32 v30, v1, v10
	v_and_b32_e32 v1, 0xff00ff00, v16
	v_and_b32_e32 v4, 0xff00ff, v9
	v_add_u32_e32 v31, v3, v1
	v_and_b32_e32 v1, 0xff00ff, v17
	v_and_b32_e32 v5, 0xff00ff00, v9
	v_add_u32_e32 v4, v4, v1
	v_and_b32_e32 v1, 0xff00ff00, v17
	v_add_u32_e32 v5, v5, v1
	v_and_b32_e32 v1, 0xff00ff, v18
	v_cmp_lt_i16_sdwa s[28:29], sext(v30), v2 src0_sel:BYTE_0 src1_sel:DWORD
	v_add_u32_e32 v17, v6, v1
	s_and_b64 s[28:29], s[94:95], s[28:29]
	v_sub_u16_e32 v6, 0, v30
	v_cndmask_b32_e64 v6, v30, v6, s[28:29]
	v_and_b32_e32 v1, 0xff00ff00, v18
	v_and_b32_e32 v6, 0xff, v6
	v_add_u32_e32 v10, v7, v1
	v_mul_hi_u32 v7, v6, s36
	v_and_b32_e32 v8, 0xff00ff, v11
	v_and_b32_e32 v1, 0xff00ff, v19
	;; [unrolled: 1-line block ×3, first 2 shown]
	v_add_u32_e32 v11, v8, v1
	v_mul_lo_u32 v8, s34, v7
	v_perm_b32 v34, v31, v30, s64
	v_and_b32_e32 v1, 0xff00ff00, v19
	v_add_u32_e32 v1, v9, v1
	v_sub_u32_e32 v6, v6, v8
	v_cmp_le_u32_e64 s[40:41], s34, v6
	v_addc_co_u32_e64 v6, s[40:41], 0, v7, s[40:41]
	v_sub_u32_e32 v7, 0, v6
	v_and_b32_e32 v8, 0x8000, v34
	v_cndmask_b32_e64 v6, v6, v7, s[28:29]
	v_lshrrev_b32_e32 v7, 8, v31
	v_cmp_ne_u32_e64 s[28:29], 0, v8
	s_and_b64 s[28:29], s[94:95], s[28:29]
	v_sub_u16_e32 v8, 0, v7
	v_cndmask_b32_e64 v7, v7, v8, s[28:29]
	v_and_b32_e32 v7, 0xff, v7
	v_mul_hi_u32 v8, v7, s36
	v_perm_b32 v35, v5, v4, s64
	v_perm_b32 v16, v10, v17, s64
	;; [unrolled: 1-line block ×3, first 2 shown]
	v_mul_lo_u32 v9, s34, v8
	v_sub_u32_e32 v7, v7, v9
	v_cmp_le_u32_e64 s[40:41], s34, v7
	v_addc_co_u32_e64 v7, s[40:41], 0, v8, s[40:41]
	v_sub_u32_e32 v8, 0, v7
	v_cndmask_b32_e64 v7, v7, v8, s[28:29]
	v_lshrrev_b32_e32 v8, 16, v30
	v_cmp_lt_i16_sdwa s[28:29], sext(v8), v2 src0_sel:BYTE_0 src1_sel:DWORD
	s_and_b64 s[28:29], s[94:95], s[28:29]
	v_sub_u16_e32 v9, 0, v8
	v_cndmask_b32_e64 v8, v8, v9, s[28:29]
	v_and_b32_e32 v8, 0xff, v8
	v_mul_hi_u32 v9, v8, s36
	v_lshlrev_b32_e32 v7, 8, v7
	v_perm_b32 v6, v7, v6, s71
	v_mul_lo_u32 v18, s34, v9
	v_sub_u32_e32 v8, v8, v18
	v_cmp_le_u32_e64 s[40:41], s34, v8
	v_addc_co_u32_e64 v8, s[40:41], 0, v9, s[40:41]
	v_sub_u32_e32 v9, 0, v8
	v_cndmask_b32_e64 v8, v8, v9, s[28:29]
	v_lshrrev_b32_e32 v9, 24, v31
	v_and_b32_e32 v18, s35, v34
	v_cmp_lt_i32_e64 s[28:29], -1, v18
	v_sub_u16_e32 v18, 0, v9
	v_cndmask_b32_e64 v9, v18, v9, s[28:29]
	v_and_b32_e32 v9, 0xff, v9
	v_mul_hi_u32 v18, v9, s36
	v_and_b32_e32 v8, 0xff, v8
	v_lshlrev_b32_e32 v8, 16, v8
	v_mul_lo_u32 v19, s34, v18
	v_sub_u32_e32 v9, v9, v19
	v_cmp_le_u32_e64 s[40:41], s34, v9
	v_addc_co_u32_e64 v9, s[40:41], 0, v18, s[40:41]
	v_sub_u32_e32 v18, 0, v9
	v_cndmask_b32_e64 v9, v18, v9, s[28:29]
	v_lshlrev_b32_e32 v9, 24, v9
	v_cmp_lt_i16_sdwa s[28:29], sext(v4), v2 src0_sel:BYTE_0 src1_sel:DWORD
	v_or3_b32 v8, v9, v8, v6
	s_and_b64 s[28:29], s[94:95], s[28:29]
	v_sub_u16_e32 v6, 0, v4
	v_cndmask_b32_e64 v6, v4, v6, s[28:29]
	v_and_b32_e32 v6, 0xff, v6
	v_mul_hi_u32 v7, v6, s36
	v_lshrrev_b32_e32 v4, 16, v4
	v_mul_lo_u32 v9, s34, v7
	v_sub_u32_e32 v6, v6, v9
	v_cmp_le_u32_e64 s[40:41], s34, v6
	v_addc_co_u32_e64 v6, s[40:41], 0, v7, s[40:41]
	v_sub_u32_e32 v7, 0, v6
	v_and_b32_e32 v9, 0x8000, v35
	v_cndmask_b32_e64 v6, v6, v7, s[28:29]
	v_lshrrev_b32_e32 v7, 8, v5
	v_cmp_ne_u32_e64 s[28:29], 0, v9
	s_and_b64 s[28:29], s[94:95], s[28:29]
	v_sub_u16_e32 v9, 0, v7
	v_cndmask_b32_e64 v7, v7, v9, s[28:29]
	v_and_b32_e32 v7, 0xff, v7
	v_mul_hi_u32 v9, v7, s36
	v_lshrrev_b32_e32 v5, 24, v5
	v_mul_lo_u32 v18, s34, v9
	v_sub_u32_e32 v7, v7, v18
	v_cmp_le_u32_e64 s[40:41], s34, v7
	v_addc_co_u32_e64 v7, s[40:41], 0, v9, s[40:41]
	v_sub_u32_e32 v9, 0, v7
	v_cndmask_b32_e64 v7, v7, v9, s[28:29]
	v_cmp_lt_i16_sdwa s[28:29], sext(v4), v2 src0_sel:BYTE_0 src1_sel:DWORD
	s_and_b64 s[28:29], s[94:95], s[28:29]
	v_sub_u16_e32 v9, 0, v4
	v_cndmask_b32_e64 v4, v4, v9, s[28:29]
	v_and_b32_e32 v4, 0xff, v4
	v_mul_hi_u32 v9, v4, s36
	v_lshlrev_b32_e32 v7, 8, v7
	v_perm_b32 v6, v7, v6, s71
	v_mul_lo_u32 v18, s34, v9
	v_sub_u32_e32 v4, v4, v18
	v_cmp_le_u32_e64 s[40:41], s34, v4
	v_addc_co_u32_e64 v4, s[40:41], 0, v9, s[40:41]
	v_sub_u32_e32 v9, 0, v4
	v_cndmask_b32_e64 v4, v4, v9, s[28:29]
	v_and_b32_e32 v9, s35, v35
	v_cmp_lt_i32_e64 s[28:29], -1, v9
	v_sub_u16_e32 v9, 0, v5
	v_cndmask_b32_e64 v5, v9, v5, s[28:29]
	v_and_b32_e32 v5, 0xff, v5
	v_mul_hi_u32 v9, v5, s36
	v_and_b32_e32 v4, 0xff, v4
	v_lshlrev_b32_e32 v4, 16, v4
	v_mul_lo_u32 v18, s34, v9
	v_sub_u32_e32 v5, v5, v18
	v_cmp_le_u32_e64 s[40:41], s34, v5
	v_addc_co_u32_e64 v5, s[40:41], 0, v9, s[40:41]
	v_sub_u32_e32 v9, 0, v5
	v_cndmask_b32_e64 v5, v9, v5, s[28:29]
	v_lshlrev_b32_e32 v5, 24, v5
	v_cmp_lt_i16_sdwa s[28:29], sext(v17), v2 src0_sel:BYTE_0 src1_sel:DWORD
	v_or3_b32 v9, v5, v4, v6
	s_and_b64 s[28:29], s[94:95], s[28:29]
	v_sub_u16_e32 v4, 0, v17
	v_cndmask_b32_e64 v4, v17, v4, s[28:29]
	v_and_b32_e32 v4, 0xff, v4
	v_mul_hi_u32 v5, v4, s36
	v_mul_lo_u32 v6, s34, v5
	v_sub_u32_e32 v4, v4, v6
	v_cmp_le_u32_e64 s[40:41], s34, v4
	v_addc_co_u32_e64 v4, s[40:41], 0, v5, s[40:41]
	v_sub_u32_e32 v5, 0, v4
	v_and_b32_e32 v6, 0x8000, v16
	v_cndmask_b32_e64 v4, v4, v5, s[28:29]
	v_lshrrev_b32_e32 v5, 8, v10
	v_cmp_ne_u32_e64 s[28:29], 0, v6
	s_and_b64 s[28:29], s[94:95], s[28:29]
	v_sub_u16_e32 v6, 0, v5
	v_cndmask_b32_e64 v5, v5, v6, s[28:29]
	v_and_b32_e32 v5, 0xff, v5
	v_mul_hi_u32 v6, v5, s36
	v_mul_lo_u32 v7, s34, v6
	v_sub_u32_e32 v5, v5, v7
	v_cmp_le_u32_e64 s[40:41], s34, v5
	v_addc_co_u32_e64 v5, s[40:41], 0, v6, s[40:41]
	v_sub_u32_e32 v6, 0, v5
	v_cndmask_b32_e64 v5, v5, v6, s[28:29]
	v_lshrrev_b32_e32 v6, 16, v17
	v_cmp_lt_i16_sdwa s[28:29], sext(v6), v2 src0_sel:BYTE_0 src1_sel:DWORD
	s_and_b64 s[28:29], s[94:95], s[28:29]
	v_sub_u16_e32 v7, 0, v6
	v_cndmask_b32_e64 v6, v6, v7, s[28:29]
	v_and_b32_e32 v6, 0xff, v6
	v_mul_hi_u32 v7, v6, s36
	v_lshlrev_b32_e32 v5, 8, v5
	v_perm_b32 v4, v5, v4, s71
	v_mul_lo_u32 v17, s34, v7
	v_sub_u32_e32 v6, v6, v17
	v_cmp_le_u32_e64 s[40:41], s34, v6
	v_addc_co_u32_e64 v6, s[40:41], 0, v7, s[40:41]
	v_sub_u32_e32 v7, 0, v6
	v_cndmask_b32_e64 v6, v6, v7, s[28:29]
	v_lshrrev_b32_e32 v7, 24, v10
	v_and_b32_e32 v10, s35, v16
	v_cmp_lt_i32_e64 s[28:29], -1, v10
	v_sub_u16_e32 v10, 0, v7
	v_cndmask_b32_e64 v7, v10, v7, s[28:29]
	v_and_b32_e32 v7, 0xff, v7
	v_mul_hi_u32 v10, v7, s36
	v_and_b32_e32 v6, 0xff, v6
	v_lshlrev_b32_e32 v6, 16, v6
	v_mul_lo_u32 v16, s34, v10
	v_sub_u32_e32 v7, v7, v16
	v_cmp_le_u32_e64 s[40:41], s34, v7
	v_addc_co_u32_e64 v7, s[40:41], 0, v10, s[40:41]
	v_sub_u32_e32 v10, 0, v7
	v_cndmask_b32_e64 v7, v10, v7, s[28:29]
	v_lshlrev_b32_e32 v7, 24, v7
	v_cmp_lt_i16_sdwa s[28:29], sext(v11), v2 src0_sel:BYTE_0 src1_sel:DWORD
	v_or3_b32 v10, v7, v6, v4
	s_and_b64 s[28:29], s[94:95], s[28:29]
	v_sub_u16_e32 v4, 0, v11
	v_cndmask_b32_e64 v4, v11, v4, s[28:29]
	v_and_b32_e32 v4, 0xff, v4
	v_mul_hi_u32 v5, v4, s36
	v_mul_lo_u32 v6, s34, v5
	v_sub_u32_e32 v4, v4, v6
	v_cmp_le_u32_e64 s[40:41], s34, v4
	v_addc_co_u32_e64 v4, s[40:41], 0, v5, s[40:41]
	v_sub_u32_e32 v5, 0, v4
	v_and_b32_e32 v6, 0x8000, v3
	v_cndmask_b32_e64 v4, v4, v5, s[28:29]
	v_lshrrev_b32_e32 v5, 8, v1
	v_cmp_ne_u32_e64 s[28:29], 0, v6
	s_and_b64 s[28:29], s[94:95], s[28:29]
	v_sub_u16_e32 v6, 0, v5
	v_cndmask_b32_e64 v5, v5, v6, s[28:29]
	v_and_b32_e32 v5, 0xff, v5
	v_mul_hi_u32 v6, v5, s36
	v_lshrrev_b32_e32 v1, 24, v1
	v_and_b32_e32 v3, s35, v3
	v_mul_lo_u32 v7, s34, v6
	v_sub_u32_e32 v5, v5, v7
	v_cmp_le_u32_e64 s[40:41], s34, v5
	v_addc_co_u32_e64 v5, s[40:41], 0, v6, s[40:41]
	v_sub_u32_e32 v6, 0, v5
	v_cndmask_b32_e64 v5, v5, v6, s[28:29]
	v_lshrrev_b32_e32 v6, 16, v11
	v_cmp_lt_i16_sdwa s[28:29], sext(v6), v2 src0_sel:BYTE_0 src1_sel:DWORD
	s_and_b64 s[28:29], s[94:95], s[28:29]
	v_sub_u16_e32 v7, 0, v6
	v_cndmask_b32_e64 v6, v6, v7, s[28:29]
	v_and_b32_e32 v6, 0xff, v6
	v_mul_hi_u32 v7, v6, s36
	v_lshlrev_b32_e32 v5, 8, v5
	v_perm_b32 v4, v5, v4, s71
	v_mul_lo_u32 v11, s34, v7
	v_sub_u32_e32 v6, v6, v11
	v_cmp_le_u32_e64 s[40:41], s34, v6
	v_addc_co_u32_e64 v6, s[40:41], 0, v7, s[40:41]
	v_sub_u32_e32 v7, 0, v6
	v_cndmask_b32_e64 v6, v6, v7, s[28:29]
	v_cmp_lt_i32_e64 s[28:29], -1, v3
	v_sub_u16_e32 v3, 0, v1
	v_cndmask_b32_e64 v1, v3, v1, s[28:29]
	v_and_b32_e32 v1, 0xff, v1
	v_mul_hi_u32 v3, v1, s36
	v_and_b32_e32 v6, 0xff, v6
	v_mul_lo_u32 v7, s34, v3
	v_sub_u32_e32 v1, v1, v7
	v_cmp_le_u32_e64 s[40:41], s34, v1
	v_addc_co_u32_e64 v1, s[40:41], 0, v3, s[40:41]
	v_sub_u32_e32 v3, 0, v1
	v_cndmask_b32_e64 v1, v3, v1, s[28:29]
	v_add_co_u32_e64 v40, s[28:29], v40, v14
	v_addc_co_u32_e64 v41, s[28:29], 0, v41, s[28:29]
	v_lshlrev_b32_e32 v3, 16, v6
	v_lshlrev_b32_e32 v1, 24, v1
	v_add_co_u32_e64 v42, s[28:29], v42, v14
	v_or3_b32 v11, v1, v3, v4
	v_addc_co_u32_e64 v43, s[28:29], 0, v43, s[28:29]
	global_store_dwordx4 v[44:45], v[8:11], off glc slc
	v_add_co_u32_e64 v44, s[28:29], v44, v14
	v_addc_co_u32_e64 v45, s[28:29], 0, v45, s[28:29]
	v_cmp_gt_i32_e64 s[28:29], 16, v61
	s_or_b64 s[30:31], s[28:29], s[30:31]
	s_andn2_b64 exec, exec, s[30:31]
	s_cbranch_execnz .LBB2_610
; %bb.611:                              ;   in Loop: Header=BB2_491 Depth=2
	s_or_b64 exec, exec, s[30:31]
	buffer_load_dword v34, off, s[0:3], s33 offset:76 ; 4-byte Folded Reload
	buffer_load_dword v35, off, s[0:3], s33 offset:80 ; 4-byte Folded Reload
	;; [unrolled: 1-line block ×11, first 2 shown]
	v_mov_b32_e32 v16, v51
	v_mov_b32_e32 v30, v48
	;; [unrolled: 1-line block ×7, first 2 shown]
.LBB2_612:                              ;   in Loop: Header=BB2_491 Depth=2
	s_or_b64 exec, exec, s[92:93]
	s_waitcnt vmcnt(0)
	v_and_b32_e32 v3, 15, v6
	v_sub_u32_e32 v1, v11, v3
	v_cndmask_b32_e32 v1, 0, v1, vcc
	v_cndmask_b32_e32 v48, v11, v3, vcc
	v_cmp_lt_i32_e32 vcc, 0, v59
	v_cndmask_b32_e32 v3, 0, v57, vcc
	v_cmp_ne_u32_e32 vcc, 0, v48
	v_sub_u32_e32 v3, v3, v59
	s_andn2_b64 s[28:29], s[42:43], exec
	s_and_b64 s[40:41], vcc, exec
	v_add3_u32 v1, v10, v8, v1
	v_lshl_add_u32 v49, v3, 6, v9
	s_or_b64 s[42:43], s[28:29], s[40:41]
.LBB2_613:                              ;   in Loop: Header=BB2_491 Depth=2
	s_or_b64 exec, exec, s[90:91]
	buffer_load_dword v61, off, s[0:3], s33 offset:136 ; 4-byte Folded Reload
	v_ashrrev_i32_e32 v59, 31, v56
	s_and_saveexec_b64 s[40:41], s[42:43]
	s_cbranch_execnz .LBB2_617
	s_branch .LBB2_625
.LBB2_614:                              ;   in Loop: Header=BB2_491 Depth=2
	s_waitcnt vmcnt(0)
	v_cmp_lt_i32_e64 s[28:29], 0, v7
	s_and_saveexec_b64 s[40:41], s[10:11]
	s_cbranch_execnz .LBB2_626
	s_branch .LBB2_644
.LBB2_615:                              ;   in Loop: Header=BB2_491 Depth=2
	s_mov_b64 s[42:43], 0
                                        ; implicit-def: $sgpr35
                                        ; implicit-def: $sgpr34
	s_andn2_b64 vcc, exec, s[40:41]
	v_mov_b32_e32 v1, 0
	s_cbranch_vccz .LBB2_603
.LBB2_616:                              ;   in Loop: Header=BB2_491 Depth=2
	v_mov_b32_e32 v48, v7
	v_mov_b32_e32 v49, v61
	s_and_saveexec_b64 s[40:41], s[42:43]
	s_cbranch_execz .LBB2_625
.LBB2_617:                              ;   in Loop: Header=BB2_491 Depth=2
	v_ashrrev_i32_e32 v3, 31, v49
	v_ashrrev_i32_e32 v4, 31, v48
	v_lshrrev_b32_e32 v3, 26, v3
	v_lshrrev_b32_e32 v4, 23, v4
	v_add_u32_e32 v3, v49, v3
	v_add_u32_e32 v4, v48, v4
	v_ashrrev_i32_e32 v40, 6, v3
	v_ashrrev_i32_e32 v42, 9, v4
	v_sub_u32_e32 v41, v42, v40
	v_cmp_lt_i32_e32 vcc, 0, v41
	s_and_saveexec_b64 s[42:43], vcc
	s_cbranch_execz .LBB2_621
; %bb.618:                              ;   in Loop: Header=BB2_491 Depth=2
	v_cvt_f32_u32_e32 v4, s34
	s_sub_i32 s28, 0, s34
	v_and_b32_e32 v3, 0xffffffc0, v3
	v_lshlrev_b32_e32 v5, 9, v40
	v_rcp_iflag_f32_e32 v4, v4
	v_sub_u32_e32 v3, v49, v3
	buffer_store_dword v7, off, s[0:3], s33 offset:140 ; 4-byte Folded Spill
	s_trap 2
	v_mul_f32_e32 v4, 0x4f7ffffe, v4
	v_cvt_u32_f32_e32 v4, v4
	v_add3_u32 v5, v1, v3, v5
	v_ashrrev_i32_e32 v6, 31, v5
	v_add_co_u32_e32 v8, vcc, v5, v30
	v_readfirstlane_b32 s29, v4
	s_mul_i32 s28, s28, s29
	s_mul_hi_u32 s28, s29, s28
	s_add_i32 s29, s29, s28
	ds_read_b64 v[3:4], v0
	s_mul_hi_u32 s28, s29, -1
	s_mul_i32 s29, s28, s34
	s_not_b32 s29, s29
	s_add_i32 s90, s28, 1
	s_sub_i32 s91, s29, s34
	v_addc_co_u32_e32 v9, vcc, v6, v31, vcc
	s_cmp_ge_u32 s29, s34
	s_waitcnt lgkmcnt(0)
	v_add_co_u32_e32 v10, vcc, v3, v5
	s_cselect_b32 s28, s90, s28
	v_addc_co_u32_e32 v11, vcc, v4, v6, vcc
	s_cselect_b32 s29, s91, s29
	s_add_i32 s90, s28, 1
	v_add_co_u32_e32 v3, vcc, 0x1c0, v16
	s_cmp_ge_u32 s29, s34
	v_addc_co_u32_e32 v4, vcc, 0, v17, vcc
	s_cselect_b32 s94, s90, s28
	s_cmp_lt_i32 s35, 0
	v_add_co_u32_e32 v51, vcc, v3, v5
	s_cselect_b64 s[90:91], -1, 0
	v_addc_co_u32_e32 v52, vcc, v4, v6, vcc
	s_mov_b64 s[92:93], 0
.LBB2_619:                              ;   Parent Loop BB2_47 Depth=1
                                        ;     Parent Loop BB2_491 Depth=2
                                        ; =>    This Inner Loop Header: Depth=3
	flat_load_ubyte v3, v[8:9] glc slc
	flat_load_ubyte v4, v[8:9] offset:64 glc slc
	flat_load_ubyte v5, v[8:9] offset:128 glc slc
	;; [unrolled: 1-line block ×7, first 2 shown]
	flat_load_ubyte v19, v[10:11] glc slc
	flat_load_ubyte v30, v[10:11] offset:64 glc slc
	flat_load_ubyte v31, v[10:11] offset:128 glc slc
	;; [unrolled: 1-line block ×7, first 2 shown]
	v_sub_u32_e32 v41, v41, v57
	s_waitcnt vmcnt(0) lgkmcnt(0)
	v_add_u16_e32 v3, v19, v3
	v_cmp_lt_i16_sdwa s[28:29], sext(v3), v2 src0_sel:BYTE_0 src1_sel:DWORD
	s_and_b64 vcc, s[90:91], s[28:29]
	v_add_u16_e32 v5, v31, v5
	v_add_u16_e32 v4, v30, v4
	;; [unrolled: 1-line block ×3, first 2 shown]
	v_sub_u16_e32 v16, 0, v3
	v_cndmask_b32_e32 v3, v3, v16, vcc
	v_and_b32_e32 v3, 0xff, v3
	v_mul_hi_u32 v16, v3, s94
	v_add_u16_e32 v31, v53, v18
	v_add_u16_e32 v6, v34, v6
	;; [unrolled: 1-line block ×3, first 2 shown]
	v_mul_lo_u32 v18, s34, v16
	v_add_u16_e32 v17, v37, v17
	v_sub_u32_e32 v3, v3, v18
	v_cmp_le_u32_e64 s[28:29], s34, v3
	v_addc_co_u32_e64 v3, s[28:29], 0, v16, s[28:29]
	v_sub_u32_e32 v16, 0, v3
	v_cmp_lt_i16_sdwa s[28:29], sext(v4), v2 src0_sel:BYTE_0 src1_sel:DWORD
	v_cndmask_b32_e32 v3, v3, v16, vcc
	s_and_b64 vcc, s[90:91], s[28:29]
	v_sub_u16_e32 v16, 0, v4
	v_cndmask_b32_e32 v4, v4, v16, vcc
	v_and_b32_e32 v4, 0xff, v4
	v_mul_hi_u32 v16, v4, s94
	v_mul_lo_u32 v18, s34, v16
	v_sub_u32_e32 v4, v4, v18
	v_cmp_le_u32_e64 s[28:29], s34, v4
	v_addc_co_u32_e64 v4, s[28:29], 0, v16, s[28:29]
	v_sub_u32_e32 v16, 0, v4
	v_cmp_lt_i16_sdwa s[28:29], sext(v5), v2 src0_sel:BYTE_0 src1_sel:DWORD
	v_cndmask_b32_e32 v16, v4, v16, vcc
	s_and_b64 vcc, s[90:91], s[28:29]
	v_sub_u16_e32 v4, 0, v5
	v_cndmask_b32_e32 v4, v5, v4, vcc
	v_and_b32_e32 v4, 0xff, v4
	v_mul_hi_u32 v5, v4, s94
	v_mul_lo_u32 v18, s34, v5
	v_sub_u32_e32 v4, v4, v18
	v_cmp_le_u32_e64 s[28:29], s34, v4
	v_addc_co_u32_e64 v4, s[28:29], 0, v5, s[28:29]
	v_sub_u32_e32 v5, 0, v4
	v_cmp_lt_i16_sdwa s[28:29], sext(v6), v2 src0_sel:BYTE_0 src1_sel:DWORD
	v_cndmask_b32_e32 v18, v4, v5, vcc
	s_and_b64 vcc, s[90:91], s[28:29]
	v_sub_u16_e32 v4, 0, v6
	v_cndmask_b32_e32 v4, v6, v4, vcc
	v_and_b32_e32 v4, 0xff, v4
	v_mul_hi_u32 v5, v4, s94
	v_mul_lo_u32 v6, s34, v5
	v_sub_u32_e32 v4, v4, v6
	v_cmp_le_u32_e64 s[28:29], s34, v4
	v_addc_co_u32_e64 v4, s[28:29], 0, v5, s[28:29]
	v_sub_u32_e32 v5, 0, v4
	v_cmp_lt_i16_sdwa s[28:29], sext(v7), v2 src0_sel:BYTE_0 src1_sel:DWORD
	v_cndmask_b32_e32 v30, v4, v5, vcc
	s_and_b64 vcc, s[90:91], s[28:29]
	v_sub_u16_e32 v4, 0, v7
	v_cndmask_b32_e32 v4, v7, v4, vcc
	v_and_b32_e32 v4, 0xff, v4
	v_mul_hi_u32 v5, v4, s94
	v_mul_lo_u32 v6, s34, v5
	v_sub_u32_e32 v4, v4, v6
	v_cmp_le_u32_e64 s[28:29], s34, v4
	v_addc_co_u32_e64 v4, s[28:29], 0, v5, s[28:29]
	v_sub_u32_e32 v5, 0, v4
	v_cmp_lt_i16_sdwa s[28:29], sext(v19), v2 src0_sel:BYTE_0 src1_sel:DWORD
	v_cndmask_b32_e32 v53, v4, v5, vcc
	s_and_b64 vcc, s[90:91], s[28:29]
	v_sub_u16_e32 v4, 0, v19
	v_cndmask_b32_e32 v4, v19, v4, vcc
	v_and_b32_e32 v4, 0xff, v4
	v_mul_hi_u32 v5, v4, s94
	v_mul_lo_u32 v6, s34, v5
	v_sub_u32_e32 v4, v4, v6
	v_cmp_le_u32_e64 s[28:29], s34, v4
	v_addc_co_u32_e64 v4, s[28:29], 0, v5, s[28:29]
	v_sub_u32_e32 v5, 0, v4
	v_cmp_lt_i16_sdwa s[28:29], sext(v17), v2 src0_sel:BYTE_0 src1_sel:DWORD
	v_cndmask_b32_e32 v54, v4, v5, vcc
	s_and_b64 vcc, s[90:91], s[28:29]
	v_sub_u16_e32 v4, 0, v17
	v_cndmask_b32_e32 v4, v17, v4, vcc
	v_and_b32_e32 v4, 0xff, v4
	v_mul_hi_u32 v5, v4, s94
	v_mul_lo_u32 v6, s34, v5
	v_sub_u32_e32 v4, v4, v6
	v_cmp_le_u32_e64 s[28:29], s34, v4
	v_addc_co_u32_e64 v4, s[28:29], 0, v5, s[28:29]
	v_sub_u32_e32 v5, 0, v4
	v_cmp_lt_i16_sdwa s[28:29], sext(v31), v2 src0_sel:BYTE_0 src1_sel:DWORD
	v_cndmask_b32_e32 v43, v4, v5, vcc
	s_and_b64 vcc, s[90:91], s[28:29]
	v_sub_u16_e32 v4, 0, v31
	v_cndmask_b32_e32 v4, v31, v4, vcc
	v_and_b32_e32 v4, 0xff, v4
	v_mul_hi_u32 v5, v4, s94
	v_mul_lo_u32 v6, s34, v5
	v_sub_u32_e32 v4, v4, v6
	v_cmp_le_u32_e64 s[28:29], s34, v4
	v_addc_co_u32_e64 v4, s[28:29], 0, v5, s[28:29]
	v_sub_u32_e32 v5, 0, v4
	v_cndmask_b32_e32 v44, v4, v5, vcc
	v_add_co_u32_e32 v4, vcc, s65, v51
	v_addc_co_u32_e32 v5, vcc, -1, v52, vcc
	flat_store_byte v[4:5], v3 glc slc
	v_add_co_u32_e32 v3, vcc, s66, v51
	v_addc_co_u32_e32 v4, vcc, -1, v52, vcc
	flat_store_byte v[3:4], v16 glc slc
	;; [unrolled: 3-line block ×6, first 2 shown]
	v_add_co_u32_e32 v3, vcc, s54, v51
	v_addc_co_u32_e32 v4, vcc, -1, v52, vcc
	v_add_co_u32_e32 v8, vcc, v8, v15
	v_addc_co_u32_e32 v9, vcc, 0, v9, vcc
	v_add_co_u32_e32 v10, vcc, v10, v15
	v_addc_co_u32_e32 v11, vcc, 0, v11, vcc
	flat_store_byte v[3:4], v43 glc slc
	flat_store_byte v[51:52], v44 glc slc
	v_add_co_u32_e32 v51, vcc, v51, v15
	v_addc_co_u32_e32 v52, vcc, 0, v52, vcc
	v_cmp_gt_i32_e32 vcc, 1, v41
	s_or_b64 s[92:93], vcc, s[92:93]
	s_andn2_b64 exec, exec, s[92:93]
	s_cbranch_execnz .LBB2_619
; %bb.620:                              ;   in Loop: Header=BB2_491 Depth=2
	s_or_b64 exec, exec, s[92:93]
	buffer_load_dword v34, off, s[0:3], s33 offset:76 ; 4-byte Folded Reload
	buffer_load_dword v35, off, s[0:3], s33 offset:80 ; 4-byte Folded Reload
	;; [unrolled: 1-line block ×7, first 2 shown]
	v_mov_b32_e32 v43, 0xc8
	v_mov_b32_e32 v19, 0x90
.LBB2_621:                              ;   in Loop: Header=BB2_491 Depth=2
	s_or_b64 exec, exec, s[42:43]
	v_lshlrev_b32_e32 v3, 9, v42
	v_cmp_ne_u32_e32 vcc, v48, v3
	s_and_b64 s[28:29], exec, vcc
	v_mov_b32_e32 v42, 0xd0
	s_mov_b64 exec, s[28:29]
	s_cbranch_execz .LBB2_625
; %bb.622:                              ;   in Loop: Header=BB2_491 Depth=2
	v_lshlrev_b32_e32 v4, 6, v40
	v_sub_u32_e32 v4, v49, v4
	v_lshlrev_b32_e32 v5, 6, v41
	v_sub_u32_e32 v4, v4, v5
	v_add_u32_e32 v8, v3, v4
	v_sub_u32_e32 v3, v48, v8
	v_cmp_lt_i32_e32 vcc, 0, v3
	s_and_b64 exec, exec, vcc
	s_cbranch_execz .LBB2_625
; %bb.623:                              ;   in Loop: Header=BB2_491 Depth=2
	v_cvt_f32_u32_e32 v4, s34
	s_sub_i32 s28, 0, s34
	v_add_u32_e32 v1, v8, v1
	s_trap 2
	v_rcp_iflag_f32_e32 v4, v4
	ds_read_b128 v[8:11], v0
	v_ashrrev_i32_e32 v6, 31, v1
	s_mov_b64 s[90:91], 0
	v_mul_f32_e32 v4, 0x4f7ffffe, v4
	v_cvt_u32_f32_e32 v4, v4
	v_readfirstlane_b32 s29, v4
	s_mul_i32 s28, s28, s29
	s_mul_hi_u32 s28, s29, s28
	s_add_i32 s29, s29, s28
	s_mul_hi_u32 s28, s29, -1
	s_mul_i32 s29, s28, s34
	s_not_b32 s29, s29
	s_add_i32 s42, s28, 1
	s_sub_i32 s43, s29, s34
	ds_read_b64 v[4:5], v0
	s_cmp_ge_u32 s29, s34
	s_waitcnt lgkmcnt(0)
	v_add_co_u32_e32 v8, vcc, v8, v1
	s_cselect_b32 s28, s42, s28
	v_addc_co_u32_e32 v9, vcc, v9, v6, vcc
	s_cselect_b32 s29, s43, s29
	s_add_i32 s42, s28, 1
	v_add_co_u32_e32 v10, vcc, v10, v1
	s_cmp_ge_u32 s29, s34
	v_addc_co_u32_e32 v11, vcc, v11, v6, vcc
	s_cselect_b32 s92, s42, s28
	v_add_co_u32_e32 v51, vcc, v4, v1
	s_cmp_lt_i32 s35, 0
	v_addc_co_u32_e32 v52, vcc, v5, v6, vcc
	s_cselect_b64 s[42:43], -1, 0
.LBB2_624:                              ;   Parent Loop BB2_47 Depth=1
                                        ;     Parent Loop BB2_491 Depth=2
                                        ; =>    This Inner Loop Header: Depth=3
	flat_load_ubyte v1, v[8:9] glc slc
	flat_load_ubyte v4, v[10:11] glc slc
	v_add_co_u32_e32 v8, vcc, v8, v60
	v_addc_co_u32_e32 v9, vcc, 0, v9, vcc
	v_add_co_u32_e32 v10, vcc, v10, v60
	v_addc_co_u32_e32 v11, vcc, 0, v11, vcc
	v_sub_u32_e32 v3, v3, v60
	v_cmp_gt_i32_e32 vcc, 1, v3
	s_waitcnt vmcnt(0) lgkmcnt(0)
	v_add_u16_e32 v1, v4, v1
	v_cmp_lt_i16_sdwa s[28:29], sext(v1), v2 src0_sel:BYTE_0 src1_sel:DWORD
	v_sub_u16_e32 v4, 0, v1
	s_and_b64 s[28:29], s[42:43], s[28:29]
	v_cndmask_b32_e64 v1, v1, v4, s[28:29]
	v_and_b32_e32 v1, 0xff, v1
	v_mul_hi_u32 v4, v1, s92
	s_or_b64 s[90:91], vcc, s[90:91]
	v_mul_lo_u32 v5, s34, v4
	v_sub_u32_e32 v1, v1, v5
	v_cmp_le_u32_e32 vcc, s34, v1
	v_addc_co_u32_e32 v1, vcc, 0, v4, vcc
	v_sub_u32_e32 v4, 0, v1
	v_cndmask_b32_e64 v1, v1, v4, s[28:29]
	flat_store_byte v[51:52], v1 glc slc
	v_add_co_u32_e32 v51, vcc, v51, v60
	v_addc_co_u32_e32 v52, vcc, 0, v52, vcc
	s_andn2_b64 exec, exec, s[90:91]
	s_cbranch_execnz .LBB2_624
.LBB2_625:                              ;   in Loop: Header=BB2_491 Depth=2
	s_or_b64 exec, exec, s[40:41]
	v_lshlrev_b32_e32 v49, 11, v57
	s_waitcnt vmcnt(0)
	v_cmp_lt_i32_e64 s[28:29], 0, v7
	s_and_saveexec_b64 s[40:41], s[10:11]
	s_cbranch_execz .LBB2_644
.LBB2_626:                              ;   in Loop: Header=BB2_491 Depth=2
	s_and_saveexec_b64 s[42:43], s[56:57]
	s_xor_b64 s[42:43], exec, s[42:43]
	s_cbranch_execz .LBB2_641
; %bb.627:                              ;   in Loop: Header=BB2_491 Depth=2
	s_and_saveexec_b64 s[90:91], s[16:17]
	s_cbranch_execz .LBB2_640
; %bb.628:                              ;   in Loop: Header=BB2_491 Depth=2
	s_mov_b64 s[94:95], exec
	v_mbcnt_lo_u32_b32 v1, s94, 0
	v_mbcnt_hi_u32_b32 v1, s95, v1
	v_cmp_eq_u32_e32 vcc, 0, v1
	s_waitcnt vmcnt(0) lgkmcnt(0)
	buffer_wbinvl1_vol
	s_and_saveexec_b64 s[92:93], vcc
	s_cbranch_execz .LBB2_630
; %bb.629:                              ;   in Loop: Header=BB2_491 Depth=2
	s_bcnt1_i32_b64 s94, s[94:95]
	v_mov_b32_e32 v3, s94
	v_mov_b32_e32 v4, v2
	ds_add_u64 v0, v[3:4]
	s_trap 2
.LBB2_630:                              ;   in Loop: Header=BB2_491 Depth=2
	s_or_b64 exec, exec, s[92:93]
	s_trap 2
	ds_read_b64 v[3:4], v0
	s_waitcnt lgkmcnt(0)
	v_add_co_u32_e32 v12, vcc, v12, v57
	v_addc_co_u32_e32 v13, vcc, 0, v13, vcc
	v_cmp_lt_u64_e32 vcc, v[3:4], v[12:13]
	s_and_saveexec_b64 s[92:93], vcc
	s_cbranch_execz .LBB2_639
; %bb.631:                              ;   in Loop: Header=BB2_491 Depth=2
	s_mov_b32 s48, 0
	s_mov_b64 s[94:95], 0
                                        ; implicit-def: $sgpr30_sgpr31
                                        ; implicit-def: $sgpr34_sgpr35
	s_branch .LBB2_633
.LBB2_632:                              ;   in Loop: Header=BB2_633 Depth=3
	s_or_b64 exec, exec, s[38:39]
	s_and_b64 vcc, exec, vcc
	s_or_b64 s[94:95], vcc, s[94:95]
	s_andn2_b64 vcc, s[30:31], exec
	s_and_b64 s[30:31], s[34:35], exec
	s_or_b64 s[30:31], vcc, s[30:31]
	s_andn2_b64 exec, exec, s[94:95]
	s_cbranch_execz .LBB2_637
.LBB2_633:                              ;   Parent Loop BB2_47 Depth=1
                                        ;     Parent Loop BB2_491 Depth=2
                                        ; =>    This Inner Loop Header: Depth=3
	s_add_i32 s48, s48, 1
	s_cmpk_lg_i32 s48, 0x2710
	s_cselect_b64 s[36:37], -1, 0
	s_and_b64 vcc, exec, s[36:37]
	s_cbranch_vccz .LBB2_635
; %bb.634:                              ;   in Loop: Header=BB2_633 Depth=3
	s_mov_b64 vcc, -1
	s_or_b64 s[34:35], s[34:35], exec
	s_and_saveexec_b64 s[38:39], s[36:37]
	s_cbranch_execz .LBB2_632
	s_branch .LBB2_636
.LBB2_635:                              ;   in Loop: Header=BB2_633 Depth=3
	s_trap 2
	ds_read_b64 v[3:4], v0
	s_andn2_b64 s[36:37], s[36:37], exec
	s_mov_b32 s48, 0
	s_waitcnt lgkmcnt(0)
	flat_load_dword v1, v[3:4] glc
	s_waitcnt vmcnt(0) lgkmcnt(0)
	buffer_wbinvl1_vol
	v_cmp_eq_u32_e32 vcc, 0, v1
	s_and_b64 vcc, vcc, exec
	s_or_b64 s[36:37], s[36:37], vcc
	s_mov_b64 vcc, -1
	s_or_b64 s[34:35], s[34:35], exec
	s_and_saveexec_b64 s[38:39], s[36:37]
	s_cbranch_execz .LBB2_632
.LBB2_636:                              ;   in Loop: Header=BB2_633 Depth=3
	s_sleep 1
	s_trap 2
	ds_read_b64 v[3:4], v0
	s_waitcnt lgkmcnt(0)
	s_andn2_b64 s[34:35], s[34:35], exec
	v_cmp_ge_u64_e32 vcc, v[3:4], v[12:13]
	s_orn2_b64 vcc, vcc, exec
	s_branch .LBB2_632
.LBB2_637:                              ;   in Loop: Header=BB2_491 Depth=2
	s_or_b64 exec, exec, s[94:95]
	s_and_saveexec_b64 s[94:95], s[30:31]
	s_xor_b64 s[94:95], exec, s[94:95]
	s_cbranch_execz .LBB2_639
; %bb.638:                              ;   in Loop: Header=BB2_491 Depth=2
	ds_write_b32 v0, v62
	s_trap 2
.LBB2_639:                              ;   in Loop: Header=BB2_491 Depth=2
	s_or_b64 exec, exec, s[92:93]
	;;#ASMSTART
	s_wakeup
	;;#ASMEND
.LBB2_640:                              ;   in Loop: Header=BB2_491 Depth=2
	s_or_b64 exec, exec, s[90:91]
.LBB2_641:                              ;   in Loop: Header=BB2_491 Depth=2
	s_andn2_saveexec_b64 s[42:43], s[42:43]
	s_cbranch_execz .LBB2_643
; %bb.642:                              ;   in Loop: Header=BB2_491 Depth=2
	s_waitcnt vmcnt(0) lgkmcnt(0)
	buffer_wbinvl1_vol
	s_barrier
.LBB2_643:                              ;   in Loop: Header=BB2_491 Depth=2
	s_or_b64 exec, exec, s[42:43]
.LBB2_644:                              ;   in Loop: Header=BB2_491 Depth=2
	s_or_b64 exec, exec, s[40:41]
	v_and_b32_e32 v1, 16, v47
	s_and_saveexec_b64 s[40:41], s[24:25]
	s_xor_b64 s[40:41], exec, s[40:41]
	s_cbranch_execz .LBB2_648
; %bb.645:                              ;   in Loop: Header=BB2_491 Depth=2
	v_and_b32_e32 v3, 16, v47
	v_cmp_ne_u32_e32 vcc, 0, v3
	v_and_b32_e32 v1, 16, v47
	s_and_b64 s[42:43], vcc, s[28:29]
	s_and_saveexec_b64 s[28:29], s[42:43]
	s_cbranch_execz .LBB2_647
; %bb.646:                              ;   in Loop: Header=BB2_491 Depth=2
	v_mov_b32_e32 v1, 1
	s_waitcnt vmcnt(0) lgkmcnt(0)
	buffer_wbinvl1_vol
.LBB2_647:                              ;   in Loop: Header=BB2_491 Depth=2
	s_or_b64 exec, exec, s[28:29]
.LBB2_648:                              ;   in Loop: Header=BB2_491 Depth=2
	s_andn2_saveexec_b64 s[28:29], s[40:41]
	s_cbranch_execz .LBB2_667
; %bb.649:                              ;   in Loop: Header=BB2_491 Depth=2
	s_and_saveexec_b64 s[40:41], s[56:57]
	s_xor_b64 s[40:41], exec, s[40:41]
	s_cbranch_execz .LBB2_664
; %bb.650:                              ;   in Loop: Header=BB2_491 Depth=2
	s_and_saveexec_b64 s[42:43], s[16:17]
	s_cbranch_execz .LBB2_663
; %bb.651:                              ;   in Loop: Header=BB2_491 Depth=2
	s_mov_b64 s[92:93], exec
	v_mbcnt_lo_u32_b32 v3, s92, 0
	v_mbcnt_hi_u32_b32 v3, s93, v3
	v_cmp_eq_u32_e32 vcc, 0, v3
	;;#ASMSTART
	s_waitcnt lgkmcnt(0) vmcnt(0)
	;;#ASMEND
	s_and_saveexec_b64 s[90:91], vcc
	s_cbranch_execz .LBB2_653
; %bb.652:                              ;   in Loop: Header=BB2_491 Depth=2
	s_bcnt1_i32_b64 s92, s[92:93]
	v_mov_b32_e32 v3, s92
	v_mov_b32_e32 v4, v2
	s_waitcnt lgkmcnt(0)
	ds_add_u64 v0, v[3:4]
	s_trap 2
.LBB2_653:                              ;   in Loop: Header=BB2_491 Depth=2
	s_or_b64 exec, exec, s[90:91]
	s_trap 2
	ds_read_b64 v[3:4], v0
	s_waitcnt lgkmcnt(0)
	v_add_co_u32_e32 v12, vcc, v12, v57
	v_addc_co_u32_e32 v13, vcc, 0, v13, vcc
	v_cmp_lt_u64_e32 vcc, v[3:4], v[12:13]
	s_and_saveexec_b64 s[90:91], vcc
	s_cbranch_execz .LBB2_662
; %bb.654:                              ;   in Loop: Header=BB2_491 Depth=2
	s_mov_b32 s38, 0
	s_mov_b64 s[92:93], 0
                                        ; implicit-def: $sgpr94_sgpr95
                                        ; implicit-def: $sgpr30_sgpr31
	s_branch .LBB2_656
.LBB2_655:                              ;   in Loop: Header=BB2_656 Depth=3
	s_or_b64 exec, exec, s[36:37]
	s_and_b64 vcc, exec, vcc
	s_or_b64 s[92:93], vcc, s[92:93]
	s_andn2_b64 s[94:95], s[94:95], exec
	s_and_b64 vcc, s[30:31], exec
	s_or_b64 s[94:95], s[94:95], vcc
	s_andn2_b64 exec, exec, s[92:93]
	s_cbranch_execz .LBB2_660
.LBB2_656:                              ;   Parent Loop BB2_47 Depth=1
                                        ;     Parent Loop BB2_491 Depth=2
                                        ; =>    This Inner Loop Header: Depth=3
	s_add_i32 s38, s38, 1
	s_cmpk_lg_i32 s38, 0x2710
	s_cselect_b64 s[34:35], -1, 0
	s_and_b64 vcc, exec, s[34:35]
	s_cbranch_vccz .LBB2_658
; %bb.657:                              ;   in Loop: Header=BB2_656 Depth=3
	s_mov_b64 vcc, -1
	s_or_b64 s[30:31], s[30:31], exec
	s_and_saveexec_b64 s[36:37], s[34:35]
	s_cbranch_execz .LBB2_655
	s_branch .LBB2_659
.LBB2_658:                              ;   in Loop: Header=BB2_656 Depth=3
	s_trap 2
	ds_read_b64 v[3:4], v0
	s_andn2_b64 s[34:35], s[34:35], exec
	s_mov_b32 s38, 0
	s_waitcnt vmcnt(0) lgkmcnt(0)
	flat_load_dword v3, v[3:4] glc
	s_waitcnt vmcnt(0) lgkmcnt(0)
	buffer_wbinvl1_vol
	v_cmp_eq_u32_e32 vcc, 0, v3
	s_and_b64 vcc, vcc, exec
	s_or_b64 s[34:35], s[34:35], vcc
	s_mov_b64 vcc, -1
	s_or_b64 s[30:31], s[30:31], exec
	s_and_saveexec_b64 s[36:37], s[34:35]
	s_cbranch_execz .LBB2_655
.LBB2_659:                              ;   in Loop: Header=BB2_656 Depth=3
	s_sleep 1
	s_trap 2
	ds_read_b64 v[3:4], v0
	s_waitcnt lgkmcnt(0)
	s_andn2_b64 s[30:31], s[30:31], exec
	v_cmp_ge_u64_e32 vcc, v[3:4], v[12:13]
	s_orn2_b64 vcc, vcc, exec
	s_branch .LBB2_655
.LBB2_660:                              ;   in Loop: Header=BB2_491 Depth=2
	s_or_b64 exec, exec, s[92:93]
	s_and_saveexec_b64 s[92:93], s[94:95]
	s_xor_b64 s[92:93], exec, s[92:93]
	s_cbranch_execz .LBB2_662
; %bb.661:                              ;   in Loop: Header=BB2_491 Depth=2
	ds_write_b32 v0, v62
	s_trap 2
.LBB2_662:                              ;   in Loop: Header=BB2_491 Depth=2
	s_or_b64 exec, exec, s[90:91]
	;;#ASMSTART
	s_wakeup
	;;#ASMEND
.LBB2_663:                              ;   in Loop: Header=BB2_491 Depth=2
	s_or_b64 exec, exec, s[42:43]
.LBB2_664:                              ;   in Loop: Header=BB2_491 Depth=2
	s_andn2_saveexec_b64 s[40:41], s[40:41]
	s_cbranch_execz .LBB2_666
; %bb.665:                              ;   in Loop: Header=BB2_491 Depth=2
	;;#ASMSTART
	s_waitcnt lgkmcnt(0) vmcnt(0)
	;;#ASMEND
	s_waitcnt vmcnt(0) lgkmcnt(0)
	s_barrier
.LBB2_666:                              ;   in Loop: Header=BB2_491 Depth=2
	s_or_b64 exec, exec, s[40:41]
.LBB2_667:                              ;   in Loop: Header=BB2_491 Depth=2
	s_or_b64 exec, exec, s[28:29]
	v_cmp_ne_u32_e32 vcc, 0, v1
	s_xor_b64 s[28:29], s[12:13], -1
	s_and_b64 s[40:41], vcc, s[28:29]
	s_and_saveexec_b64 s[28:29], s[40:41]
	s_cbranch_execz .LBB2_669
; %bb.668:                              ;   in Loop: Header=BB2_491 Depth=2
	flat_store_dword v[24:25], v62
.LBB2_669:                              ;   in Loop: Header=BB2_491 Depth=2
	s_or_b64 exec, exec, s[28:29]
	v_and_b32_e32 v1, 48, v47
	v_cmp_ne_u32_e32 vcc, 0, v1
	s_and_saveexec_b64 s[28:29], vcc
	s_cbranch_execz .LBB2_490
; %bb.670:                              ;   in Loop: Header=BB2_491 Depth=2
	v_add_co_u32_e32 v38, vcc, 2, v38
	v_addc_co_u32_e32 v39, vcc, 0, v39, vcc
	flat_store_dwordx2 v[20:21], v[38:39]
	s_branch .LBB2_490
.LBB2_671:                              ;   in Loop: Header=BB2_47 Depth=1
	s_or_b64 exec, exec, s[76:77]
	v_cmp_gt_i32_e32 vcc, 2, v1
	s_and_saveexec_b64 s[40:41], vcc
	s_cbranch_execz .LBB2_747
.LBB2_672:                              ;   in Loop: Header=BB2_47 Depth=1
	v_cmp_eq_u32_e64 s[76:77], 0, v1
	s_mov_b64 s[42:43], 0
	s_branch .LBB2_674
.LBB2_673:                              ;   in Loop: Header=BB2_674 Depth=2
	s_or_b64 exec, exec, s[28:29]
	v_add_u32_e32 v55, v50, v55
	s_mov_b64 s[76:77], 0
	s_andn2_b64 exec, exec, s[42:43]
	s_cbranch_execz .LBB2_748
.LBB2_674:                              ;   Parent Loop BB2_47 Depth=1
                                        ; =>  This Loop Header: Depth=2
                                        ;       Child Loop BB2_680 Depth 3
                                        ;       Child Loop BB2_708 Depth 3
	;; [unrolled: 1-line block ×3, first 2 shown]
	v_sub_u32_e32 v1, v54, v55
	v_min_i32_e32 v50, v50, v1
	v_and_b32_e32 v1, 12, v47
	v_cmp_ne_u32_e32 vcc, 0, v1
	s_and_saveexec_b64 s[78:79], vcc
	s_cbranch_execz .LBB2_700
; %bb.675:                              ;   in Loop: Header=BB2_674 Depth=2
	v_and_b32_e32 v1, 8, v47
	s_waitcnt vmcnt(0) lgkmcnt(0)
	v_add_co_u32_e32 v3, vcc, v26, v1
	v_addc_co_u32_e32 v4, vcc, 0, v27, vcc
	v_add_co_u32_e32 v8, vcc, 2, v38
	v_addc_co_u32_e32 v9, vcc, 0, v39, vcc
	v_cmp_lt_u64_e32 vcc, v[3:4], v[8:9]
	s_and_saveexec_b64 s[88:89], vcc
	s_cbranch_execz .LBB2_687
; %bb.676:                              ;   in Loop: Header=BB2_674 Depth=2
	v_and_b32_e32 v3, 64, v47
	s_mov_b32 s75, 0
	v_cmp_eq_u32_e32 vcc, 0, v3
	s_mov_b64 s[90:91], 0
                                        ; implicit-def: $sgpr92_sgpr93
                                        ; implicit-def: $sgpr94_sgpr95
                                        ; implicit-def: $sgpr30_sgpr31
	s_branch .LBB2_680
.LBB2_677:                              ;   in Loop: Header=BB2_680 Depth=3
	s_waitcnt vmcnt(0) lgkmcnt(0)
	v_add_co_u32_e64 v4, s[28:29], v26, v1
	v_addc_co_u32_e64 v5, s[28:29], 0, v27, s[28:29]
	v_cmp_ge_u64_e64 s[28:29], v[4:5], v[8:9]
	s_or_b64 s[38:39], s[38:39], exec
	s_orn2_b64 s[36:37], s[28:29], exec
.LBB2_678:                              ;   in Loop: Header=BB2_680 Depth=3
	s_or_b64 exec, exec, s[50:51]
	s_andn2_b64 s[28:29], s[30:31], exec
	s_and_b64 s[30:31], s[38:39], exec
	s_or_b64 s[30:31], s[28:29], s[30:31]
	s_andn2_b64 s[28:29], s[94:95], exec
	s_and_b64 s[94:95], s[36:37], exec
	s_or_b64 s[94:95], s[28:29], s[94:95]
.LBB2_679:                              ;   in Loop: Header=BB2_680 Depth=3
	s_or_b64 exec, exec, s[34:35]
	s_and_b64 s[28:29], exec, s[94:95]
	s_or_b64 s[90:91], s[28:29], s[90:91]
	s_andn2_b64 s[28:29], s[92:93], exec
	s_and_b64 s[92:93], s[30:31], exec
	s_or_b64 s[92:93], s[28:29], s[92:93]
	s_andn2_b64 exec, exec, s[90:91]
	s_cbranch_execz .LBB2_684
.LBB2_680:                              ;   Parent Loop BB2_47 Depth=1
                                        ;     Parent Loop BB2_674 Depth=2
                                        ; =>    This Inner Loop Header: Depth=3
	s_sleep 1
	s_waitcnt vmcnt(0) lgkmcnt(0)
	flat_load_dwordx2 v[26:27], v[20:21] glc
	s_or_b64 s[30:31], s[30:31], exec
	s_or_b64 s[94:95], s[94:95], exec
                                        ; implicit-def: $vgpr3
	s_and_saveexec_b64 s[34:35], vcc
	s_cbranch_execz .LBB2_679
; %bb.681:                              ;   in Loop: Header=BB2_680 Depth=3
	s_cmpk_lt_i32 s75, 0x270f
	s_cselect_b64 s[48:49], -1, 0
	s_cmpk_gt_i32 s75, 0x270e
	s_mov_b64 s[36:37], -1
	s_cbranch_scc0 .LBB2_683
; %bb.682:                              ;   in Loop: Header=BB2_680 Depth=3
	s_trap 2
	ds_read_b64 v[3:4], v0
	s_andn2_b64 s[48:49], s[48:49], exec
	s_mov_b32 s75, 0
	s_mov_b64 s[38:39], 0
	s_waitcnt vmcnt(0) lgkmcnt(0)
	flat_load_dword v3, v[3:4] glc
	s_waitcnt vmcnt(0) lgkmcnt(0)
	buffer_wbinvl1_vol
	v_cmp_eq_u32_e64 s[28:29], 0, v3
	s_and_b64 s[28:29], s[28:29], exec
	s_or_b64 s[48:49], s[48:49], s[28:29]
	s_and_saveexec_b64 s[50:51], s[48:49]
	s_cbranch_execz .LBB2_678
	s_branch .LBB2_677
.LBB2_683:                              ;   in Loop: Header=BB2_680 Depth=3
	s_add_i32 s75, s75, 1
	s_mov_b64 s[38:39], -1
                                        ; implicit-def: $vgpr3
	s_and_saveexec_b64 s[50:51], s[48:49]
	s_cbranch_execz .LBB2_678
	s_branch .LBB2_677
.LBB2_684:                              ;   in Loop: Header=BB2_674 Depth=2
	s_or_b64 exec, exec, s[90:91]
	s_xor_b64 s[28:29], s[92:93], -1
	s_and_saveexec_b64 s[90:91], s[28:29]
	s_xor_b64 s[28:29], exec, s[90:91]
	s_cbranch_execz .LBB2_686
; %bb.685:                              ;   in Loop: Header=BB2_674 Depth=2
	v_or_b32_e32 v47, 64, v47
	s_waitcnt lgkmcnt(0)
	ds_write_b32 v0, v3
	s_trap 2
.LBB2_686:                              ;   in Loop: Header=BB2_674 Depth=2
	s_or_b64 exec, exec, s[28:29]
.LBB2_687:                              ;   in Loop: Header=BB2_674 Depth=2
	s_or_b64 exec, exec, s[88:89]
	v_and_b32_e32 v3, 0x108, v47
	v_cmp_ne_u32_e32 vcc, s55, v3
	;;#ASMSTART
	s_wakeup
	;;#ASMEND
                                        ; implicit-def: $vgpr10_vgpr11
	s_and_saveexec_b64 s[28:29], vcc
	s_xor_b64 s[28:29], exec, s[28:29]
; %bb.688:                              ;   in Loop: Header=BB2_674 Depth=2
	v_and_b32_e32 v10, 7, v38
	v_mov_b32_e32 v11, v2
                                        ; implicit-def: $vgpr38_vgpr39
; %bb.689:                              ;   in Loop: Header=BB2_674 Depth=2
	s_andn2_saveexec_b64 s[28:29], s[28:29]
	s_cbranch_execz .LBB2_691
; %bb.690:                              ;   in Loop: Header=BB2_674 Depth=2
	v_and_b32_e32 v10, 7, v38
	v_mad_u64_u32 v[3:4], s[88:89], v10, 24, v[34:35]
	v_mov_b32_e32 v11, v2
	v_ashrrev_i32_e32 v51, 31, v50
	flat_store_dwordx2 v[3:4], v[50:51] offset:8
.LBB2_691:                              ;   in Loop: Header=BB2_674 Depth=2
	s_or_b64 exec, exec, s[28:29]
	v_and_b32_e32 v3, 0x100, v47
	v_cmp_ne_u32_e32 vcc, 0, v3
	s_mov_b64 s[28:29], -1
                                        ; implicit-def: $vgpr38_vgpr39
	s_and_saveexec_b64 s[88:89], vcc
	s_cbranch_execz .LBB2_695
; %bb.692:                              ;   in Loop: Header=BB2_674 Depth=2
	v_mad_u64_u32 v[51:52], s[28:29], v10, 24, v[34:35]
                                        ; implicit-def: $vgpr38_vgpr39
	v_mov_b32_e32 v3, v52
	v_mad_u64_u32 v[3:4], s[28:29], v11, 24, v[3:4]
	v_mov_b32_e32 v52, v3
	flat_load_dword v3, v[51:52]
	s_waitcnt vmcnt(0) lgkmcnt(0)
	v_cmp_ne_u32_e32 vcc, 1, v3
	v_cmp_eq_u32_e64 s[28:29], 1, v3
	s_and_saveexec_b64 s[90:91], s[28:29]
	s_cbranch_execz .LBB2_694
; %bb.693:                              ;   in Loop: Header=BB2_674 Depth=2
	flat_load_dword v38, v[51:52] offset:4 glc
	s_waitcnt vmcnt(0) lgkmcnt(0)
	v_ashrrev_i32_e32 v39, 31, v38
.LBB2_694:                              ;   in Loop: Header=BB2_674 Depth=2
	s_or_b64 exec, exec, s[90:91]
	s_orn2_b64 s[28:29], vcc, exec
.LBB2_695:                              ;   in Loop: Header=BB2_674 Depth=2
	s_or_b64 exec, exec, s[88:89]
	s_and_saveexec_b64 s[88:89], s[28:29]
	s_cbranch_execz .LBB2_697
; %bb.696:                              ;   in Loop: Header=BB2_674 Depth=2
	v_mul_lo_u32 v3, v11, v56
	v_mul_lo_u32 v4, v10, v59
	v_mad_u64_u32 v[38:39], s[28:29], v10, v56, 0
	v_add3_u32 v39, v39, v4, v3
.LBB2_697:                              ;   in Loop: Header=BB2_674 Depth=2
	s_or_b64 exec, exec, s[88:89]
	v_cmp_eq_u32_e32 vcc, 0, v1
	v_cndmask_b32_e32 v1, v42, v19, vcc
	v_add_co_u32_e32 v3, vcc, v22, v38
	v_addc_co_u32_e32 v4, vcc, v23, v39, vcc
	v_add_u32_e32 v1, v0, v1
	ds_write_b64 v1, v[3:4] offset:584
	v_and_b32_e32 v1, 0x2000, v47
	v_cmp_ne_u32_e32 vcc, 0, v1
	s_and_saveexec_b64 s[28:29], vcc
	s_cbranch_execz .LBB2_699
; %bb.698:                              ;   in Loop: Header=BB2_674 Depth=2
	ds_read_b64 v[3:4], v0 offset:872
	s_waitcnt lgkmcnt(0)
	v_add_co_u32_e32 v3, vcc, 1, v3
	v_addc_co_u32_e32 v4, vcc, 0, v4, vcc
	ds_write_b64 v0, v[3:4] offset:872
.LBB2_699:                              ;   in Loop: Header=BB2_674 Depth=2
	s_or_b64 exec, exec, s[28:29]
	v_mov_b32_e32 v39, v9
	v_mov_b32_e32 v38, v8
.LBB2_700:                              ;   in Loop: Header=BB2_674 Depth=2
	s_or_b64 exec, exec, s[78:79]
	s_xor_b64 s[28:29], s[76:77], -1
	s_and_b64 s[28:29], exec, s[28:29]
	s_or_b64 s[42:43], s[28:29], s[42:43]
	s_and_saveexec_b64 s[28:29], s[10:11]
	s_cbranch_execz .LBB2_719
; %bb.701:                              ;   in Loop: Header=BB2_674 Depth=2
	s_and_saveexec_b64 s[76:77], s[56:57]
	s_xor_b64 s[76:77], exec, s[76:77]
	s_cbranch_execz .LBB2_716
; %bb.702:                              ;   in Loop: Header=BB2_674 Depth=2
	s_and_saveexec_b64 s[78:79], s[16:17]
	s_cbranch_execz .LBB2_715
; %bb.703:                              ;   in Loop: Header=BB2_674 Depth=2
	s_mov_b64 s[90:91], exec
	v_mbcnt_lo_u32_b32 v1, s90, 0
	v_mbcnt_hi_u32_b32 v1, s91, v1
	v_cmp_eq_u32_e32 vcc, 0, v1
	s_waitcnt vmcnt(0) lgkmcnt(0)
	buffer_wbinvl1_vol
	s_and_saveexec_b64 s[88:89], vcc
	s_cbranch_execz .LBB2_705
; %bb.704:                              ;   in Loop: Header=BB2_674 Depth=2
	s_bcnt1_i32_b64 s75, s[90:91]
	v_mov_b32_e32 v3, s75
	v_mov_b32_e32 v4, v2
	ds_add_u64 v0, v[3:4]
	s_trap 2
.LBB2_705:                              ;   in Loop: Header=BB2_674 Depth=2
	s_or_b64 exec, exec, s[88:89]
	s_trap 2
	ds_read_b64 v[3:4], v0
	s_waitcnt lgkmcnt(0)
	v_add_co_u32_e32 v12, vcc, v12, v57
	v_addc_co_u32_e32 v13, vcc, 0, v13, vcc
	v_cmp_lt_u64_e32 vcc, v[3:4], v[12:13]
	s_and_saveexec_b64 s[88:89], vcc
	s_cbranch_execz .LBB2_714
; %bb.706:                              ;   in Loop: Header=BB2_674 Depth=2
	s_mov_b32 s75, 0
	s_mov_b64 s[90:91], 0
                                        ; implicit-def: $sgpr92_sgpr93
                                        ; implicit-def: $sgpr94_sgpr95
	s_branch .LBB2_708
.LBB2_707:                              ;   in Loop: Header=BB2_708 Depth=3
	s_or_b64 exec, exec, s[34:35]
	s_and_b64 vcc, exec, vcc
	s_or_b64 s[90:91], vcc, s[90:91]
	s_andn2_b64 s[92:93], s[92:93], exec
	s_and_b64 vcc, s[94:95], exec
	s_or_b64 s[92:93], s[92:93], vcc
	s_andn2_b64 exec, exec, s[90:91]
	s_cbranch_execz .LBB2_712
.LBB2_708:                              ;   Parent Loop BB2_47 Depth=1
                                        ;     Parent Loop BB2_674 Depth=2
                                        ; =>    This Inner Loop Header: Depth=3
	s_add_i32 s75, s75, 1
	s_cmpk_lg_i32 s75, 0x2710
	s_cselect_b64 s[30:31], -1, 0
	s_and_b64 vcc, exec, s[30:31]
	s_cbranch_vccz .LBB2_710
; %bb.709:                              ;   in Loop: Header=BB2_708 Depth=3
	s_mov_b64 vcc, -1
	s_or_b64 s[94:95], s[94:95], exec
	s_and_saveexec_b64 s[34:35], s[30:31]
	s_cbranch_execz .LBB2_707
	s_branch .LBB2_711
.LBB2_710:                              ;   in Loop: Header=BB2_708 Depth=3
	s_trap 2
	ds_read_b64 v[3:4], v0
	s_andn2_b64 s[30:31], s[30:31], exec
	s_mov_b32 s75, 0
	s_waitcnt lgkmcnt(0)
	flat_load_dword v1, v[3:4] glc
	s_waitcnt vmcnt(0) lgkmcnt(0)
	buffer_wbinvl1_vol
	v_cmp_eq_u32_e32 vcc, 0, v1
	s_and_b64 vcc, vcc, exec
	s_or_b64 s[30:31], s[30:31], vcc
	s_mov_b64 vcc, -1
	s_or_b64 s[94:95], s[94:95], exec
	s_and_saveexec_b64 s[34:35], s[30:31]
	s_cbranch_execz .LBB2_707
.LBB2_711:                              ;   in Loop: Header=BB2_708 Depth=3
	s_sleep 1
	s_trap 2
	ds_read_b64 v[3:4], v0
	s_waitcnt lgkmcnt(0)
	s_andn2_b64 s[94:95], s[94:95], exec
	v_cmp_ge_u64_e32 vcc, v[3:4], v[12:13]
	s_orn2_b64 vcc, vcc, exec
	s_branch .LBB2_707
.LBB2_712:                              ;   in Loop: Header=BB2_674 Depth=2
	s_or_b64 exec, exec, s[90:91]
	s_and_saveexec_b64 s[90:91], s[92:93]
	s_xor_b64 s[90:91], exec, s[90:91]
	s_cbranch_execz .LBB2_714
; %bb.713:                              ;   in Loop: Header=BB2_674 Depth=2
	ds_write_b32 v0, v62
	s_trap 2
.LBB2_714:                              ;   in Loop: Header=BB2_674 Depth=2
	s_or_b64 exec, exec, s[88:89]
	;;#ASMSTART
	s_wakeup
	;;#ASMEND
.LBB2_715:                              ;   in Loop: Header=BB2_674 Depth=2
	s_or_b64 exec, exec, s[78:79]
.LBB2_716:                              ;   in Loop: Header=BB2_674 Depth=2
	s_andn2_saveexec_b64 s[76:77], s[76:77]
	s_cbranch_execz .LBB2_718
; %bb.717:                              ;   in Loop: Header=BB2_674 Depth=2
	s_waitcnt vmcnt(0) lgkmcnt(0)
	buffer_wbinvl1_vol
	s_barrier
.LBB2_718:                              ;   in Loop: Header=BB2_674 Depth=2
	s_or_b64 exec, exec, s[76:77]
.LBB2_719:                              ;   in Loop: Header=BB2_674 Depth=2
	s_or_b64 exec, exec, s[28:29]
	v_and_b32_e32 v1, 16, v47
	s_and_saveexec_b64 s[28:29], s[24:25]
	s_xor_b64 s[28:29], exec, s[28:29]
	s_cbranch_execz .LBB2_723
; %bb.720:                              ;   in Loop: Header=BB2_674 Depth=2
	s_trap 2
	ds_read_b32 v1, v0
	v_cmp_lt_i32_e32 vcc, 0, v50
	v_and_b32_e32 v3, 16, v47
	s_waitcnt lgkmcnt(0)
	v_readfirstlane_b32 s75, v1
	s_cmp_eq_u32 s75, 0
	s_cselect_b64 s[76:77], -1, 0
	s_and_b64 s[76:77], vcc, s[76:77]
	v_cmp_ne_u32_e32 vcc, 0, v3
	v_and_b32_e32 v1, 16, v47
	s_and_b64 s[78:79], vcc, s[76:77]
	s_and_saveexec_b64 s[76:77], s[78:79]
	s_cbranch_execz .LBB2_722
; %bb.721:                              ;   in Loop: Header=BB2_674 Depth=2
	v_mov_b32_e32 v1, 1
	s_waitcnt vmcnt(0)
	buffer_wbinvl1_vol
.LBB2_722:                              ;   in Loop: Header=BB2_674 Depth=2
	s_or_b64 exec, exec, s[76:77]
.LBB2_723:                              ;   in Loop: Header=BB2_674 Depth=2
	s_andn2_saveexec_b64 s[28:29], s[28:29]
	s_cbranch_execz .LBB2_742
; %bb.724:                              ;   in Loop: Header=BB2_674 Depth=2
	s_and_saveexec_b64 s[76:77], s[56:57]
	s_xor_b64 s[76:77], exec, s[76:77]
	s_cbranch_execz .LBB2_739
; %bb.725:                              ;   in Loop: Header=BB2_674 Depth=2
	s_and_saveexec_b64 s[78:79], s[16:17]
	s_cbranch_execz .LBB2_738
; %bb.726:                              ;   in Loop: Header=BB2_674 Depth=2
	s_mov_b64 s[90:91], exec
	v_mbcnt_lo_u32_b32 v3, s90, 0
	v_mbcnt_hi_u32_b32 v3, s91, v3
	v_cmp_eq_u32_e32 vcc, 0, v3
	;;#ASMSTART
	s_waitcnt lgkmcnt(0) vmcnt(0)
	;;#ASMEND
	s_and_saveexec_b64 s[88:89], vcc
	s_cbranch_execz .LBB2_728
; %bb.727:                              ;   in Loop: Header=BB2_674 Depth=2
	s_bcnt1_i32_b64 s75, s[90:91]
	v_mov_b32_e32 v3, s75
	v_mov_b32_e32 v4, v2
	s_waitcnt lgkmcnt(0)
	ds_add_u64 v0, v[3:4]
	s_trap 2
.LBB2_728:                              ;   in Loop: Header=BB2_674 Depth=2
	s_or_b64 exec, exec, s[88:89]
	s_trap 2
	ds_read_b64 v[3:4], v0
	s_waitcnt lgkmcnt(0)
	v_add_co_u32_e32 v12, vcc, v12, v57
	v_addc_co_u32_e32 v13, vcc, 0, v13, vcc
	v_cmp_lt_u64_e32 vcc, v[3:4], v[12:13]
	s_and_saveexec_b64 s[88:89], vcc
	s_cbranch_execz .LBB2_737
; %bb.729:                              ;   in Loop: Header=BB2_674 Depth=2
	s_mov_b32 s75, 0
	s_mov_b64 s[90:91], 0
                                        ; implicit-def: $sgpr92_sgpr93
                                        ; implicit-def: $sgpr94_sgpr95
	s_branch .LBB2_731
.LBB2_730:                              ;   in Loop: Header=BB2_731 Depth=3
	s_or_b64 exec, exec, s[34:35]
	s_and_b64 vcc, exec, vcc
	s_or_b64 s[90:91], vcc, s[90:91]
	s_andn2_b64 s[92:93], s[92:93], exec
	s_and_b64 vcc, s[94:95], exec
	s_or_b64 s[92:93], s[92:93], vcc
	s_andn2_b64 exec, exec, s[90:91]
	s_cbranch_execz .LBB2_735
.LBB2_731:                              ;   Parent Loop BB2_47 Depth=1
                                        ;     Parent Loop BB2_674 Depth=2
                                        ; =>    This Inner Loop Header: Depth=3
	s_add_i32 s75, s75, 1
	s_cmpk_lg_i32 s75, 0x2710
	s_cselect_b64 s[30:31], -1, 0
	s_and_b64 vcc, exec, s[30:31]
	s_cbranch_vccz .LBB2_733
; %bb.732:                              ;   in Loop: Header=BB2_731 Depth=3
	s_mov_b64 vcc, -1
	s_or_b64 s[94:95], s[94:95], exec
	s_and_saveexec_b64 s[34:35], s[30:31]
	s_cbranch_execz .LBB2_730
	s_branch .LBB2_734
.LBB2_733:                              ;   in Loop: Header=BB2_731 Depth=3
	s_trap 2
	ds_read_b64 v[3:4], v0
	s_andn2_b64 s[30:31], s[30:31], exec
	s_mov_b32 s75, 0
	s_waitcnt vmcnt(0) lgkmcnt(0)
	flat_load_dword v3, v[3:4] glc
	s_waitcnt vmcnt(0) lgkmcnt(0)
	buffer_wbinvl1_vol
	v_cmp_eq_u32_e32 vcc, 0, v3
	s_and_b64 vcc, vcc, exec
	s_or_b64 s[30:31], s[30:31], vcc
	s_mov_b64 vcc, -1
	s_or_b64 s[94:95], s[94:95], exec
	s_and_saveexec_b64 s[34:35], s[30:31]
	s_cbranch_execz .LBB2_730
.LBB2_734:                              ;   in Loop: Header=BB2_731 Depth=3
	s_sleep 1
	s_trap 2
	ds_read_b64 v[3:4], v0
	s_waitcnt lgkmcnt(0)
	s_andn2_b64 s[94:95], s[94:95], exec
	v_cmp_ge_u64_e32 vcc, v[3:4], v[12:13]
	s_orn2_b64 vcc, vcc, exec
	s_branch .LBB2_730
.LBB2_735:                              ;   in Loop: Header=BB2_674 Depth=2
	s_or_b64 exec, exec, s[90:91]
	s_and_saveexec_b64 s[90:91], s[92:93]
	s_xor_b64 s[90:91], exec, s[90:91]
	s_cbranch_execz .LBB2_737
; %bb.736:                              ;   in Loop: Header=BB2_674 Depth=2
	ds_write_b32 v0, v62
	s_trap 2
.LBB2_737:                              ;   in Loop: Header=BB2_674 Depth=2
	s_or_b64 exec, exec, s[88:89]
	;;#ASMSTART
	s_wakeup
	;;#ASMEND
.LBB2_738:                              ;   in Loop: Header=BB2_674 Depth=2
	s_or_b64 exec, exec, s[78:79]
.LBB2_739:                              ;   in Loop: Header=BB2_674 Depth=2
	s_andn2_saveexec_b64 s[76:77], s[76:77]
	s_cbranch_execz .LBB2_741
; %bb.740:                              ;   in Loop: Header=BB2_674 Depth=2
	;;#ASMSTART
	s_waitcnt lgkmcnt(0) vmcnt(0)
	;;#ASMEND
	s_waitcnt vmcnt(0) lgkmcnt(0)
	s_barrier
.LBB2_741:                              ;   in Loop: Header=BB2_674 Depth=2
	s_or_b64 exec, exec, s[76:77]
.LBB2_742:                              ;   in Loop: Header=BB2_674 Depth=2
	s_or_b64 exec, exec, s[28:29]
	v_cmp_ne_u32_e32 vcc, 0, v1
	s_xor_b64 s[28:29], s[12:13], -1
	s_and_b64 s[76:77], vcc, s[28:29]
	s_and_saveexec_b64 s[28:29], s[76:77]
	s_cbranch_execz .LBB2_744
; %bb.743:                              ;   in Loop: Header=BB2_674 Depth=2
	flat_store_dword v[24:25], v62
.LBB2_744:                              ;   in Loop: Header=BB2_674 Depth=2
	s_or_b64 exec, exec, s[28:29]
	v_and_b32_e32 v1, 48, v47
	v_cmp_ne_u32_e32 vcc, 0, v1
	s_and_saveexec_b64 s[28:29], vcc
	s_cbranch_execz .LBB2_673
; %bb.745:                              ;   in Loop: Header=BB2_674 Depth=2
	v_add_co_u32_e32 v38, vcc, 2, v38
	v_addc_co_u32_e32 v39, vcc, 0, v39, vcc
	flat_store_dwordx2 v[20:21], v[38:39]
	s_branch .LBB2_673
.LBB2_746:                              ;   in Loop: Header=BB2_47 Depth=1
	s_or_b64 exec, exec, s[78:79]
	s_or_b64 exec, exec, s[76:77]
	v_cmp_gt_i32_e32 vcc, 2, v1
	s_and_saveexec_b64 s[40:41], vcc
	s_cbranch_execnz .LBB2_672
.LBB2_747:                              ;   in Loop: Header=BB2_47 Depth=1
	s_or_b64 exec, exec, s[40:41]
	s_and_b64 vcc, exec, s[26:27]
	s_cbranch_vccz .LBB2_749
	s_branch .LBB2_1007
.LBB2_748:                              ;   in Loop: Header=BB2_47 Depth=1
	s_or_b64 exec, exec, s[42:43]
	s_or_b64 exec, exec, s[40:41]
	s_and_b64 vcc, exec, s[26:27]
	s_cbranch_vccnz .LBB2_1007
.LBB2_749:                              ;   in Loop: Header=BB2_47 Depth=1
	s_mov_b32 s75, 1
.LBB2_750:                              ;   Parent Loop BB2_47 Depth=1
                                        ; =>  This Loop Header: Depth=2
                                        ;       Child Loop BB2_753 Depth 3
                                        ;         Child Loop BB2_761 Depth 4
                                        ;         Child Loop BB2_789 Depth 4
	;; [unrolled: 1-line block ×4, first 2 shown]
                                        ;           Child Loop BB2_832 Depth 5
                                        ;         Child Loop BB2_838 Depth 4
                                        ;           Child Loop BB2_839 Depth 5
                                        ;         Child Loop BB2_846 Depth 4
                                        ;         Child Loop BB2_851 Depth 4
                                        ;           Child Loop BB2_852 Depth 5
                                        ;         Child Loop BB2_864 Depth 4
                                        ;         Child Loop BB2_869 Depth 4
	;; [unrolled: 1-line block ×6, first 2 shown]
                                        ;       Child Loop BB2_931 Depth 3
                                        ;         Child Loop BB2_937 Depth 4
                                        ;         Child Loop BB2_965 Depth 4
	;; [unrolled: 1-line block ×3, first 2 shown]
	buffer_load_dword v5, off, s[0:3], s33 offset:108 ; 4-byte Folded Reload
	buffer_load_dword v6, off, s[0:3], s33 offset:112 ; 4-byte Folded Reload
	s_sub_i32 s26, s82, s75
	s_cmp_ge_i32 s26, s52
	s_cselect_b32 s27, s52, 0
	s_sub_i32 s26, s26, s27
	s_ashr_i32 s28, s26, 31
	v_mov_b32_e32 v10, 0
	s_waitcnt vmcnt(0)
	v_mul_lo_u32 v3, v5, s28
	v_mul_lo_u32 v1, v6, s26
	v_mad_u64_u32 v[8:9], s[26:27], v5, s26, 0
	v_add3_u32 v9, v9, v3, v1
	buffer_load_dword v3, off, s[0:3], s33 offset:100 ; 4-byte Folded Reload
	buffer_load_dword v4, off, s[0:3], s33 offset:104 ; 4-byte Folded Reload
	s_waitcnt vmcnt(0)
	v_sub_co_u32_e32 v3, vcc, v3, v8
	v_subb_co_u32_e32 v4, vcc, v4, v9, vcc
	v_cmp_lt_i64_e32 vcc, v[5:6], v[3:4]
	v_cndmask_b32_e32 v3, v3, v5, vcc
	v_max_i32_e32 v1, 0, v3
	v_add_u32_e32 v4, 31, v1
	v_lshrrev_b32_e32 v4, 1, v4
	v_and_b32_e32 v4, 0x3ffffff0, v4
	v_cmp_lt_i32_e32 vcc, 0, v3
	v_max_i32_e32 v50, s85, v4
	s_and_b64 s[26:27], s[72:73], vcc
	v_mov_b32_e32 v3, 0
	s_and_saveexec_b64 s[42:43], s[26:27]
	s_cbranch_execz .LBB2_928
; %bb.751:                              ;   in Loop: Header=BB2_750 Depth=2
	buffer_load_dword v3, off, s[0:3], s33 offset:68 ; 4-byte Folded Reload
	s_mov_b32 s50, 1
	s_mov_b64 s[78:79], -1
	s_mov_b64 s[76:77], 0
	s_waitcnt vmcnt(0)
	v_add_co_u32_e32 v55, vcc, v8, v3
	buffer_load_dword v3, off, s[0:3], s33 offset:72 ; 4-byte Folded Reload
	s_waitcnt vmcnt(0)
	v_addc_co_u32_e32 v44, vcc, v9, v3, vcc
	v_mov_b32_e32 v3, 0
	s_branch .LBB2_753
.LBB2_752:                              ;   in Loop: Header=BB2_753 Depth=3
	s_or_b64 exec, exec, s[26:27]
	v_add_u32_e32 v3, v50, v3
	v_cmp_ge_i32_e32 vcc, v3, v1
	s_xor_b64 s[26:27], s[78:79], -1
	s_or_b64 s[26:27], s[26:27], vcc
	s_and_b64 s[26:27], exec, s[26:27]
	s_or_b64 s[76:77], s[26:27], s[76:77]
	s_mov_b64 s[78:79], 0
	v_mov_b32_e32 v10, s50
	s_mov_b32 s50, 2
	s_andn2_b64 exec, exec, s[76:77]
	s_cbranch_execz .LBB2_1003
.LBB2_753:                              ;   Parent Loop BB2_47 Depth=1
                                        ;     Parent Loop BB2_750 Depth=2
                                        ; =>    This Loop Header: Depth=3
                                        ;         Child Loop BB2_761 Depth 4
                                        ;         Child Loop BB2_789 Depth 4
	;; [unrolled: 1-line block ×4, first 2 shown]
                                        ;           Child Loop BB2_832 Depth 5
                                        ;         Child Loop BB2_838 Depth 4
                                        ;           Child Loop BB2_839 Depth 5
                                        ;         Child Loop BB2_846 Depth 4
                                        ;         Child Loop BB2_851 Depth 4
                                        ;           Child Loop BB2_852 Depth 5
                                        ;         Child Loop BB2_864 Depth 4
                                        ;         Child Loop BB2_869 Depth 4
                                        ;         Child Loop BB2_875 Depth 4
                                        ;         Child Loop BB2_880 Depth 4
                                        ;         Child Loop BB2_890 Depth 4
                                        ;         Child Loop BB2_913 Depth 4
	s_and_saveexec_b64 s[26:27], s[4:5]
	s_cbranch_execz .LBB2_755
; %bb.754:                              ;   in Loop: Header=BB2_753 Depth=3
	s_trap 2
	ds_read_b128 v[4:7], v0
	v_ashrrev_i32_e32 v8, 31, v3
	s_waitcnt lgkmcnt(0)
	v_add_co_u32_e32 v4, vcc, v4, v55
	v_addc_co_u32_e32 v5, vcc, v5, v44, vcc
	v_add_co_u32_e32 v4, vcc, v4, v3
	v_addc_co_u32_e32 v5, vcc, v5, v8, vcc
	ds_write_b64 v0, v[4:5]
	v_add_co_u32_e32 v4, vcc, v6, v55
	v_addc_co_u32_e32 v5, vcc, v7, v44, vcc
	v_add_co_u32_e32 v4, vcc, v4, v3
	v_addc_co_u32_e32 v5, vcc, v5, v8, vcc
	v_cmp_ne_u64_e32 vcc, 0, v[6:7]
	v_cndmask_b32_e32 v5, 0, v5, vcc
	v_cndmask_b32_e32 v4, 0, v4, vcc
	ds_write_b64 v0, v[4:5]
.LBB2_755:                              ;   in Loop: Header=BB2_753 Depth=3
	s_or_b64 exec, exec, s[26:27]
	v_sub_u32_e32 v4, v1, v3
	v_min_i32_e32 v50, v50, v4
	v_and_b32_e32 v4, 12, v47
	v_cmp_ne_u32_e32 vcc, 0, v4
	s_and_saveexec_b64 s[28:29], vcc
	s_cbranch_execz .LBB2_781
; %bb.756:                              ;   in Loop: Header=BB2_753 Depth=3
	v_and_b32_e32 v16, 8, v47
	s_waitcnt vmcnt(0) lgkmcnt(0)
	v_add_co_u32_e32 v4, vcc, v26, v16
	v_addc_co_u32_e32 v5, vcc, 0, v27, vcc
	v_add_co_u32_e32 v8, vcc, 2, v38
	v_addc_co_u32_e32 v9, vcc, 0, v39, vcc
	v_cmp_lt_u64_e32 vcc, v[4:5], v[8:9]
	s_and_saveexec_b64 s[40:41], vcc
	s_cbranch_execz .LBB2_768
; %bb.757:                              ;   in Loop: Header=BB2_753 Depth=3
	v_and_b32_e32 v4, 64, v47
	s_mov_b32 s51, 0
	v_cmp_eq_u32_e32 vcc, 0, v4
	s_mov_b64 s[88:89], 0
                                        ; implicit-def: $sgpr90_sgpr91
                                        ; implicit-def: $sgpr92_sgpr93
                                        ; implicit-def: $sgpr94_sgpr95
	s_branch .LBB2_761
.LBB2_758:                              ;   in Loop: Header=BB2_761 Depth=4
	s_waitcnt vmcnt(0) lgkmcnt(0)
	v_add_co_u32_e64 v4, s[26:27], v26, v16
	v_addc_co_u32_e64 v5, s[26:27], 0, v27, s[26:27]
	v_cmp_ge_u64_e64 s[26:27], v[4:5], v[8:9]
	s_or_b64 s[36:37], s[36:37], exec
	s_orn2_b64 s[34:35], s[26:27], exec
.LBB2_759:                              ;   in Loop: Header=BB2_761 Depth=4
	s_or_b64 exec, exec, s[48:49]
	s_andn2_b64 s[26:27], s[94:95], exec
	s_and_b64 s[94:95], s[36:37], exec
	s_or_b64 s[94:95], s[26:27], s[94:95]
	s_andn2_b64 s[26:27], s[92:93], exec
	s_and_b64 s[92:93], s[34:35], exec
	s_or_b64 s[92:93], s[26:27], s[92:93]
.LBB2_760:                              ;   in Loop: Header=BB2_761 Depth=4
	s_or_b64 exec, exec, s[30:31]
	s_and_b64 s[26:27], exec, s[92:93]
	s_or_b64 s[88:89], s[26:27], s[88:89]
	s_andn2_b64 s[26:27], s[90:91], exec
	s_and_b64 s[90:91], s[94:95], exec
	s_or_b64 s[90:91], s[26:27], s[90:91]
	s_andn2_b64 exec, exec, s[88:89]
	s_cbranch_execz .LBB2_765
.LBB2_761:                              ;   Parent Loop BB2_47 Depth=1
                                        ;     Parent Loop BB2_750 Depth=2
                                        ;       Parent Loop BB2_753 Depth=3
                                        ; =>      This Inner Loop Header: Depth=4
	s_sleep 1
	s_waitcnt vmcnt(0) lgkmcnt(0)
	flat_load_dwordx2 v[26:27], v[20:21] glc
	s_or_b64 s[94:95], s[94:95], exec
	s_or_b64 s[92:93], s[92:93], exec
                                        ; implicit-def: $vgpr10
	s_and_saveexec_b64 s[30:31], vcc
	s_cbranch_execz .LBB2_760
; %bb.762:                              ;   in Loop: Header=BB2_761 Depth=4
	s_cmpk_lt_i32 s51, 0x270f
	s_cselect_b64 s[38:39], -1, 0
	s_cmpk_gt_i32 s51, 0x270e
	s_mov_b64 s[34:35], -1
	s_cbranch_scc0 .LBB2_764
; %bb.763:                              ;   in Loop: Header=BB2_761 Depth=4
	s_trap 2
	ds_read_b64 v[4:5], v0
	s_andn2_b64 s[38:39], s[38:39], exec
	s_mov_b32 s51, 0
	s_mov_b64 s[36:37], 0
	s_waitcnt vmcnt(0) lgkmcnt(0)
	flat_load_dword v10, v[4:5] glc
	s_waitcnt vmcnt(0) lgkmcnt(0)
	buffer_wbinvl1_vol
	v_cmp_eq_u32_e64 s[26:27], 0, v10
	s_and_b64 s[26:27], s[26:27], exec
	s_or_b64 s[38:39], s[38:39], s[26:27]
	s_and_saveexec_b64 s[48:49], s[38:39]
	s_cbranch_execz .LBB2_759
	s_branch .LBB2_758
.LBB2_764:                              ;   in Loop: Header=BB2_761 Depth=4
	s_add_i32 s51, s51, 1
	s_mov_b64 s[36:37], -1
                                        ; implicit-def: $vgpr10
	s_and_saveexec_b64 s[48:49], s[38:39]
	s_cbranch_execz .LBB2_759
	s_branch .LBB2_758
.LBB2_765:                              ;   in Loop: Header=BB2_753 Depth=3
	s_or_b64 exec, exec, s[88:89]
	s_xor_b64 s[26:27], s[90:91], -1
	s_and_saveexec_b64 s[88:89], s[26:27]
	s_xor_b64 s[26:27], exec, s[88:89]
	s_cbranch_execz .LBB2_767
; %bb.766:                              ;   in Loop: Header=BB2_753 Depth=3
	v_or_b32_e32 v47, 64, v47
	s_waitcnt lgkmcnt(0)
	ds_write_b32 v0, v10
	s_trap 2
.LBB2_767:                              ;   in Loop: Header=BB2_753 Depth=3
	s_or_b64 exec, exec, s[26:27]
.LBB2_768:                              ;   in Loop: Header=BB2_753 Depth=3
	s_or_b64 exec, exec, s[40:41]
	v_and_b32_e32 v4, 0x108, v47
	v_cmp_ne_u32_e32 vcc, s55, v4
	;;#ASMSTART
	s_wakeup
	;;#ASMEND
                                        ; implicit-def: $vgpr10_vgpr11
	s_and_saveexec_b64 s[26:27], vcc
	s_xor_b64 s[26:27], exec, s[26:27]
; %bb.769:                              ;   in Loop: Header=BB2_753 Depth=3
	v_and_b32_e32 v10, 7, v38
	v_mov_b32_e32 v11, v2
                                        ; implicit-def: $vgpr38_vgpr39
; %bb.770:                              ;   in Loop: Header=BB2_753 Depth=3
	s_andn2_saveexec_b64 s[26:27], s[26:27]
	s_cbranch_execz .LBB2_772
; %bb.771:                              ;   in Loop: Header=BB2_753 Depth=3
	v_and_b32_e32 v10, 7, v38
	v_mad_u64_u32 v[4:5], s[40:41], v10, 24, v[34:35]
	v_mov_b32_e32 v11, v2
	v_ashrrev_i32_e32 v51, 31, v50
	flat_store_dwordx2 v[4:5], v[50:51] offset:8
.LBB2_772:                              ;   in Loop: Header=BB2_753 Depth=3
	s_or_b64 exec, exec, s[26:27]
	v_and_b32_e32 v4, 0x100, v47
	v_cmp_ne_u32_e32 vcc, 0, v4
	s_mov_b64 s[26:27], -1
                                        ; implicit-def: $vgpr38_vgpr39
	s_and_saveexec_b64 s[40:41], vcc
	s_cbranch_execz .LBB2_776
; %bb.773:                              ;   in Loop: Header=BB2_753 Depth=3
	v_mad_u64_u32 v[51:52], s[26:27], v10, 24, v[34:35]
                                        ; implicit-def: $vgpr38_vgpr39
	v_mov_b32_e32 v4, v52
	v_mad_u64_u32 v[4:5], s[26:27], v11, 24, v[4:5]
	v_mov_b32_e32 v52, v4
	flat_load_dword v4, v[51:52]
	s_waitcnt vmcnt(0) lgkmcnt(0)
	v_cmp_ne_u32_e32 vcc, 1, v4
	v_cmp_eq_u32_e64 s[26:27], 1, v4
	s_and_saveexec_b64 s[88:89], s[26:27]
	s_cbranch_execz .LBB2_775
; %bb.774:                              ;   in Loop: Header=BB2_753 Depth=3
	flat_load_dword v38, v[51:52] offset:4 glc
	s_waitcnt vmcnt(0) lgkmcnt(0)
	v_ashrrev_i32_e32 v39, 31, v38
.LBB2_775:                              ;   in Loop: Header=BB2_753 Depth=3
	s_or_b64 exec, exec, s[88:89]
	s_orn2_b64 s[26:27], vcc, exec
.LBB2_776:                              ;   in Loop: Header=BB2_753 Depth=3
	s_or_b64 exec, exec, s[40:41]
	s_and_saveexec_b64 s[40:41], s[26:27]
	s_cbranch_execz .LBB2_778
; %bb.777:                              ;   in Loop: Header=BB2_753 Depth=3
	v_mul_lo_u32 v4, v11, v56
	v_mul_lo_u32 v5, v10, v59
	v_mad_u64_u32 v[38:39], s[26:27], v10, v56, 0
	v_add3_u32 v39, v39, v5, v4
.LBB2_778:                              ;   in Loop: Header=BB2_753 Depth=3
	s_or_b64 exec, exec, s[40:41]
	v_cmp_eq_u32_e32 vcc, 0, v16
	v_mov_b32_e32 v4, 0x88
	v_cndmask_b32_e32 v6, v42, v4, vcc
	v_add_co_u32_e32 v4, vcc, v22, v38
	v_addc_co_u32_e32 v5, vcc, v23, v39, vcc
	v_add_u32_e32 v6, v0, v6
	ds_write_b64 v6, v[4:5] offset:584
	v_and_b32_e32 v4, 0x2000, v47
	v_cmp_ne_u32_e32 vcc, 0, v4
	s_and_saveexec_b64 s[26:27], vcc
	s_cbranch_execz .LBB2_780
; %bb.779:                              ;   in Loop: Header=BB2_753 Depth=3
	ds_read_b64 v[4:5], v0 offset:872
	s_waitcnt lgkmcnt(0)
	v_add_co_u32_e32 v4, vcc, 1, v4
	v_addc_co_u32_e32 v5, vcc, 0, v5, vcc
	ds_write_b64 v0, v[4:5] offset:872
.LBB2_780:                              ;   in Loop: Header=BB2_753 Depth=3
	s_or_b64 exec, exec, s[26:27]
	v_mov_b32_e32 v39, v9
	v_mov_b32_e32 v38, v8
.LBB2_781:                              ;   in Loop: Header=BB2_753 Depth=3
	s_or_b64 exec, exec, s[28:29]
	s_and_saveexec_b64 s[26:27], s[10:11]
	s_cbranch_execz .LBB2_800
; %bb.782:                              ;   in Loop: Header=BB2_753 Depth=3
	s_and_saveexec_b64 s[28:29], s[56:57]
	s_xor_b64 s[28:29], exec, s[28:29]
	s_cbranch_execz .LBB2_797
; %bb.783:                              ;   in Loop: Header=BB2_753 Depth=3
	s_and_saveexec_b64 s[40:41], s[16:17]
	s_cbranch_execz .LBB2_796
; %bb.784:                              ;   in Loop: Header=BB2_753 Depth=3
	s_mov_b64 s[90:91], exec
	v_mbcnt_lo_u32_b32 v4, s90, 0
	v_mbcnt_hi_u32_b32 v4, s91, v4
	v_cmp_eq_u32_e32 vcc, 0, v4
	s_waitcnt vmcnt(0) lgkmcnt(0)
	buffer_wbinvl1_vol
	s_and_saveexec_b64 s[88:89], vcc
	s_cbranch_execz .LBB2_786
; %bb.785:                              ;   in Loop: Header=BB2_753 Depth=3
	s_bcnt1_i32_b64 s90, s[90:91]
	v_mov_b32_e32 v4, s90
	v_mov_b32_e32 v5, v2
	ds_add_u64 v0, v[4:5]
	s_trap 2
.LBB2_786:                              ;   in Loop: Header=BB2_753 Depth=3
	s_or_b64 exec, exec, s[88:89]
	s_trap 2
	ds_read_b64 v[4:5], v0
	s_waitcnt lgkmcnt(0)
	v_add_co_u32_e32 v12, vcc, v12, v57
	v_addc_co_u32_e32 v13, vcc, 0, v13, vcc
	v_cmp_lt_u64_e32 vcc, v[4:5], v[12:13]
	s_and_saveexec_b64 s[88:89], vcc
	s_cbranch_execz .LBB2_795
; %bb.787:                              ;   in Loop: Header=BB2_753 Depth=3
	s_mov_b32 s36, 0
	s_mov_b64 s[90:91], 0
                                        ; implicit-def: $sgpr92_sgpr93
                                        ; implicit-def: $sgpr94_sgpr95
	s_branch .LBB2_789
.LBB2_788:                              ;   in Loop: Header=BB2_789 Depth=4
	s_or_b64 exec, exec, s[34:35]
	s_and_b64 vcc, exec, vcc
	s_or_b64 s[90:91], vcc, s[90:91]
	s_andn2_b64 s[92:93], s[92:93], exec
	s_and_b64 vcc, s[94:95], exec
	s_or_b64 s[92:93], s[92:93], vcc
	s_andn2_b64 exec, exec, s[90:91]
	s_cbranch_execz .LBB2_793
.LBB2_789:                              ;   Parent Loop BB2_47 Depth=1
                                        ;     Parent Loop BB2_750 Depth=2
                                        ;       Parent Loop BB2_753 Depth=3
                                        ; =>      This Inner Loop Header: Depth=4
	s_add_i32 s36, s36, 1
	s_cmpk_lg_i32 s36, 0x2710
	s_cselect_b64 s[30:31], -1, 0
	s_and_b64 vcc, exec, s[30:31]
	s_cbranch_vccz .LBB2_791
; %bb.790:                              ;   in Loop: Header=BB2_789 Depth=4
	s_mov_b64 vcc, -1
	s_or_b64 s[94:95], s[94:95], exec
	s_and_saveexec_b64 s[34:35], s[30:31]
	s_cbranch_execz .LBB2_788
	s_branch .LBB2_792
.LBB2_791:                              ;   in Loop: Header=BB2_789 Depth=4
	s_trap 2
	ds_read_b64 v[4:5], v0
	s_andn2_b64 s[30:31], s[30:31], exec
	s_mov_b32 s36, 0
	s_waitcnt lgkmcnt(0)
	flat_load_dword v4, v[4:5] glc
	s_waitcnt vmcnt(0) lgkmcnt(0)
	buffer_wbinvl1_vol
	v_cmp_eq_u32_e32 vcc, 0, v4
	s_and_b64 vcc, vcc, exec
	s_or_b64 s[30:31], s[30:31], vcc
	s_mov_b64 vcc, -1
	s_or_b64 s[94:95], s[94:95], exec
	s_and_saveexec_b64 s[34:35], s[30:31]
	s_cbranch_execz .LBB2_788
.LBB2_792:                              ;   in Loop: Header=BB2_789 Depth=4
	s_sleep 1
	s_trap 2
	ds_read_b64 v[4:5], v0
	s_waitcnt lgkmcnt(0)
	s_andn2_b64 s[94:95], s[94:95], exec
	v_cmp_ge_u64_e32 vcc, v[4:5], v[12:13]
	s_orn2_b64 vcc, vcc, exec
	s_branch .LBB2_788
.LBB2_793:                              ;   in Loop: Header=BB2_753 Depth=3
	s_or_b64 exec, exec, s[90:91]
	s_and_saveexec_b64 s[90:91], s[92:93]
	s_xor_b64 s[90:91], exec, s[90:91]
	s_cbranch_execz .LBB2_795
; %bb.794:                              ;   in Loop: Header=BB2_753 Depth=3
	ds_write_b32 v0, v62
	s_trap 2
.LBB2_795:                              ;   in Loop: Header=BB2_753 Depth=3
	s_or_b64 exec, exec, s[88:89]
	;;#ASMSTART
	s_wakeup
	;;#ASMEND
.LBB2_796:                              ;   in Loop: Header=BB2_753 Depth=3
	s_or_b64 exec, exec, s[40:41]
.LBB2_797:                              ;   in Loop: Header=BB2_753 Depth=3
	s_andn2_saveexec_b64 s[28:29], s[28:29]
	s_cbranch_execz .LBB2_799
; %bb.798:                              ;   in Loop: Header=BB2_753 Depth=3
	s_waitcnt vmcnt(0) lgkmcnt(0)
	buffer_wbinvl1_vol
	s_barrier
.LBB2_799:                              ;   in Loop: Header=BB2_753 Depth=3
	s_or_b64 exec, exec, s[28:29]
.LBB2_800:                              ;   in Loop: Header=BB2_753 Depth=3
	s_or_b64 exec, exec, s[26:27]
	s_trap 2
	ds_read_b32 v8, v0
	v_and_b32_e32 v4, 0x4000, v47
	v_cmp_ne_u32_e32 vcc, 0, v4
	s_xor_b64 s[26:27], s[6:7], -1
	s_and_b64 s[28:29], s[26:27], vcc
	s_and_saveexec_b64 s[26:27], s[28:29]
	s_cbranch_execz .LBB2_819
; %bb.801:                              ;   in Loop: Header=BB2_753 Depth=3
	s_and_saveexec_b64 s[28:29], s[56:57]
	s_xor_b64 s[28:29], exec, s[28:29]
	s_cbranch_execz .LBB2_816
; %bb.802:                              ;   in Loop: Header=BB2_753 Depth=3
	s_and_saveexec_b64 s[40:41], s[16:17]
	s_cbranch_execz .LBB2_815
; %bb.803:                              ;   in Loop: Header=BB2_753 Depth=3
	s_mov_b64 s[90:91], exec
	v_mbcnt_lo_u32_b32 v4, s90, 0
	v_mbcnt_hi_u32_b32 v4, s91, v4
	v_cmp_eq_u32_e32 vcc, 0, v4
	s_waitcnt vmcnt(0) lgkmcnt(0)
	buffer_wbinvl1_vol
	s_and_saveexec_b64 s[88:89], vcc
	s_cbranch_execz .LBB2_805
; %bb.804:                              ;   in Loop: Header=BB2_753 Depth=3
	s_bcnt1_i32_b64 s90, s[90:91]
	v_mov_b32_e32 v4, s90
	v_mov_b32_e32 v5, v2
	ds_add_u64 v0, v[4:5]
	s_trap 2
.LBB2_805:                              ;   in Loop: Header=BB2_753 Depth=3
	s_or_b64 exec, exec, s[88:89]
	s_trap 2
	ds_read_b64 v[4:5], v0
	s_waitcnt lgkmcnt(0)
	v_add_co_u32_e32 v12, vcc, v12, v57
	v_addc_co_u32_e32 v13, vcc, 0, v13, vcc
	v_cmp_lt_u64_e32 vcc, v[4:5], v[12:13]
	s_and_saveexec_b64 s[88:89], vcc
	s_cbranch_execz .LBB2_814
; %bb.806:                              ;   in Loop: Header=BB2_753 Depth=3
	s_mov_b32 s36, 0
	s_mov_b64 s[90:91], 0
                                        ; implicit-def: $sgpr92_sgpr93
                                        ; implicit-def: $sgpr94_sgpr95
	s_branch .LBB2_808
.LBB2_807:                              ;   in Loop: Header=BB2_808 Depth=4
	s_or_b64 exec, exec, s[34:35]
	s_and_b64 vcc, exec, vcc
	s_or_b64 s[90:91], vcc, s[90:91]
	s_andn2_b64 s[92:93], s[92:93], exec
	s_and_b64 vcc, s[94:95], exec
	s_or_b64 s[92:93], s[92:93], vcc
	s_andn2_b64 exec, exec, s[90:91]
	s_cbranch_execz .LBB2_812
.LBB2_808:                              ;   Parent Loop BB2_47 Depth=1
                                        ;     Parent Loop BB2_750 Depth=2
                                        ;       Parent Loop BB2_753 Depth=3
                                        ; =>      This Inner Loop Header: Depth=4
	s_add_i32 s36, s36, 1
	s_cmpk_lg_i32 s36, 0x2710
	s_cselect_b64 s[30:31], -1, 0
	s_and_b64 vcc, exec, s[30:31]
	s_cbranch_vccz .LBB2_810
; %bb.809:                              ;   in Loop: Header=BB2_808 Depth=4
	s_mov_b64 vcc, -1
	s_or_b64 s[94:95], s[94:95], exec
	s_and_saveexec_b64 s[34:35], s[30:31]
	s_cbranch_execz .LBB2_807
	s_branch .LBB2_811
.LBB2_810:                              ;   in Loop: Header=BB2_808 Depth=4
	s_trap 2
	ds_read_b64 v[4:5], v0
	s_andn2_b64 s[30:31], s[30:31], exec
	s_mov_b32 s36, 0
	s_waitcnt lgkmcnt(0)
	flat_load_dword v4, v[4:5] glc
	s_waitcnt vmcnt(0) lgkmcnt(0)
	buffer_wbinvl1_vol
	v_cmp_eq_u32_e32 vcc, 0, v4
	s_and_b64 vcc, vcc, exec
	s_or_b64 s[30:31], s[30:31], vcc
	s_mov_b64 vcc, -1
	s_or_b64 s[94:95], s[94:95], exec
	s_and_saveexec_b64 s[34:35], s[30:31]
	s_cbranch_execz .LBB2_807
.LBB2_811:                              ;   in Loop: Header=BB2_808 Depth=4
	s_sleep 1
	s_trap 2
	ds_read_b64 v[4:5], v0
	s_waitcnt lgkmcnt(0)
	s_andn2_b64 s[94:95], s[94:95], exec
	v_cmp_ge_u64_e32 vcc, v[4:5], v[12:13]
	s_orn2_b64 vcc, vcc, exec
	s_branch .LBB2_807
.LBB2_812:                              ;   in Loop: Header=BB2_753 Depth=3
	s_or_b64 exec, exec, s[90:91]
	s_and_saveexec_b64 s[90:91], s[92:93]
	s_xor_b64 s[90:91], exec, s[90:91]
	s_cbranch_execz .LBB2_814
; %bb.813:                              ;   in Loop: Header=BB2_753 Depth=3
	ds_write_b32 v0, v62
	s_trap 2
.LBB2_814:                              ;   in Loop: Header=BB2_753 Depth=3
	s_or_b64 exec, exec, s[88:89]
	;;#ASMSTART
	s_wakeup
	;;#ASMEND
.LBB2_815:                              ;   in Loop: Header=BB2_753 Depth=3
	s_or_b64 exec, exec, s[40:41]
.LBB2_816:                              ;   in Loop: Header=BB2_753 Depth=3
	s_andn2_saveexec_b64 s[28:29], s[28:29]
	s_cbranch_execz .LBB2_818
; %bb.817:                              ;   in Loop: Header=BB2_753 Depth=3
	s_waitcnt vmcnt(0) lgkmcnt(0)
	buffer_wbinvl1_vol
	s_barrier
.LBB2_818:                              ;   in Loop: Header=BB2_753 Depth=3
	s_or_b64 exec, exec, s[28:29]
.LBB2_819:                              ;   in Loop: Header=BB2_753 Depth=3
	s_or_b64 exec, exec, s[26:27]
	s_trap 2
	ds_read_b64 v[51:52], v0
	s_waitcnt lgkmcnt(0)
	v_cmp_eq_u64_e32 vcc, 0, v[51:52]
	s_cbranch_vccnz .LBB2_828
; %bb.820:                              ;   in Loop: Header=BB2_753 Depth=3
	s_trap 2
	ds_read_b64 v[53:54], v0
	s_waitcnt lgkmcnt(0)
	v_cmp_eq_u64_e32 vcc, 0, v[53:54]
	s_cbranch_vccnz .LBB2_828
; %bb.821:                              ;   in Loop: Header=BB2_753 Depth=3
	s_trap 2
	ds_read_b64 v[40:41], v0
	v_cmp_eq_u32_e64 s[26:27], 0, v8
	v_cndmask_b32_e64 v45, 0, v50, s[26:27]
	s_mov_b64 s[26:27], -1
	s_waitcnt lgkmcnt(0)
	v_cmp_ne_u64_e32 vcc, 0, v[40:41]
	s_cbranch_vccz .LBB2_855
; %bb.822:                              ;   in Loop: Header=BB2_753 Depth=3
	s_and_saveexec_b64 s[28:29], s[20:21]
	s_cbranch_execz .LBB2_824
; %bb.823:                              ;   in Loop: Header=BB2_753 Depth=3
	ds_read_b32 v4, v0 offset:720
	s_waitcnt lgkmcnt(0)
	v_and_b32_e32 v4, 15, v4
	v_cmp_eq_u32_e32 vcc, 0, v4
	s_orn2_b64 s[26:27], vcc, exec
.LBB2_824:                              ;   in Loop: Header=BB2_753 Depth=3
	s_or_b64 exec, exec, s[28:29]
	s_and_saveexec_b64 s[28:29], s[22:23]
	s_cbranch_execz .LBB2_826
; %bb.825:                              ;   in Loop: Header=BB2_753 Depth=3
	ds_read_b32 v4, v0 offset:784
	s_waitcnt lgkmcnt(0)
	v_and_b32_e32 v4, 15, v4
	v_cmp_eq_u32_e32 vcc, 0, v4
	s_and_b64 s[40:41], s[26:27], vcc
	s_andn2_b64 s[26:27], s[26:27], exec
	s_and_b64 s[40:41], s[40:41], exec
	s_or_b64 s[26:27], s[26:27], s[40:41]
.LBB2_826:                              ;   in Loop: Header=BB2_753 Depth=3
	s_or_b64 exec, exec, s[28:29]
	s_xor_b64 s[26:27], s[26:27], -1
	v_cndmask_b32_e64 v4, 0, 1, s[26:27]
	s_mov_b64 s[28:29], -1
	v_mov_b32_e32 v16, 0
	v_cmp_ne_u32_e32 vcc, 0, v4
	v_mov_b32_e32 v18, v45
	s_waitcnt vmcnt(0)
	v_mov_b32_e32 v30, v61
	s_cbranch_vccz .LBB2_829
; %bb.827:                              ;   in Loop: Header=BB2_753 Depth=3
	s_and_saveexec_b64 s[40:41], s[28:29]
	s_cbranch_execnz .LBB2_844
	s_branch .LBB2_854
.LBB2_828:                              ;   in Loop: Header=BB2_753 Depth=3
	s_mov_b64 s[26:27], 0
	s_and_saveexec_b64 s[28:29], s[10:11]
	s_cbranch_execnz .LBB2_883
	s_branch .LBB2_901
.LBB2_829:                              ;   in Loop: Header=BB2_753 Depth=3
	v_ashrrev_i32_e32 v4, 31, v45
	v_lshrrev_b32_e32 v4, 22, v4
	v_add_u32_e32 v4, v45, v4
	v_ashrrev_i32_e32 v5, 10, v4
	v_and_b32_e32 v48, 0xfffffc00, v4
	buffer_load_dword v4, off, s[0:3], s33 offset:92 ; 4-byte Folded Reload
	v_sub_u32_e32 v16, v45, v46
	v_sub_u32_e32 v46, v45, v48
	v_cmp_lt_i32_e64 s[26:27], 15, v46
	s_waitcnt vmcnt(0)
	v_sub_u32_e32 v4, v5, v4
	v_addc_co_u32_e64 v49, vcc, 0, v4, s[26:27]
	v_cmp_lt_i32_e32 vcc, 15, v16
	s_and_saveexec_b64 s[88:89], vcc
	s_cbranch_execz .LBB2_835
; %bb.830:                              ;   in Loop: Header=BB2_753 Depth=3
	buffer_load_dword v4, off, s[0:3], s33 offset:96 ; 4-byte Folded Reload
	s_mov_b64 s[90:91], 0
	s_waitcnt vmcnt(0)
	v_add_co_u32_e32 v42, vcc, v51, v4
	v_addc_co_u32_e32 v43, vcc, 0, v52, vcc
	v_add_co_u32_e32 v17, vcc, v53, v4
	v_addc_co_u32_e32 v18, vcc, 0, v54, vcc
	;; [unrolled: 2-line block ×3, first 2 shown]
.LBB2_831:                              ;   Parent Loop BB2_47 Depth=1
                                        ;     Parent Loop BB2_750 Depth=2
                                        ;       Parent Loop BB2_753 Depth=3
                                        ; =>      This Loop Header: Depth=4
                                        ;           Child Loop BB2_832 Depth 5
	global_load_dwordx4 v[8:11], v[42:43], off glc slc
	s_mov_b64 s[92:93], -1
	s_mov_b64 s[94:95], 0
	s_waitcnt vmcnt(0)
.LBB2_832:                              ;   Parent Loop BB2_47 Depth=1
                                        ;     Parent Loop BB2_750 Depth=2
                                        ;       Parent Loop BB2_753 Depth=3
                                        ;         Parent Loop BB2_831 Depth=4
                                        ; =>        This Inner Loop Header: Depth=5
	s_cmp_eq_u32 s94, 1
	s_cselect_b64 s[28:29], -1, 0
	v_cndmask_b32_e64 v5, v18, v31, s[28:29]
	v_cndmask_b32_e64 v4, v17, v30, s[28:29]
	global_store_dwordx4 v[4:5], v[8:11], off glc slc
	v_add_co_u32_e32 v4, vcc, 0x400, v4
	s_cmp_eq_u32 s94, 0
	v_addc_co_u32_e32 v5, vcc, 0, v5, vcc
	s_cselect_b64 vcc, -1, 0
	s_and_b64 s[40:41], exec, s[92:93]
	s_mov_b64 s[94:95], 1
	v_cndmask_b32_e64 v30, v30, v4, s[28:29]
	s_mov_b64 s[92:93], 0
	v_cndmask_b32_e64 v31, v31, v5, s[28:29]
	v_cndmask_b32_e32 v18, v18, v5, vcc
	v_cndmask_b32_e32 v17, v17, v4, vcc
	s_mov_b64 vcc, s[40:41]
	s_cbranch_vccnz .LBB2_832
; %bb.833:                              ;   in Loop: Header=BB2_831 Depth=4
	v_add_co_u32_e32 v17, vcc, v17, v33
	v_addc_co_u32_e32 v18, vcc, v18, v0, vcc
	v_add_co_u32_e32 v30, vcc, v30, v33
	v_addc_co_u32_e32 v31, vcc, v31, v0, vcc
	;; [unrolled: 2-line block ×3, first 2 shown]
	v_sub_u32_e32 v16, v16, v14
	v_cmp_gt_i32_e32 vcc, 16, v16
	s_or_b64 s[90:91], vcc, s[90:91]
	v_sub_u32_e32 v49, v49, v57
	s_andn2_b64 exec, exec, s[90:91]
	s_cbranch_execnz .LBB2_831
; %bb.834:                              ;   in Loop: Header=BB2_753 Depth=3
	s_or_b64 exec, exec, s[90:91]
	v_mov_b32_e32 v43, 0xc8
	v_mov_b32_e32 v42, 0xd0
.LBB2_835:                              ;   in Loop: Header=BB2_753 Depth=3
	s_or_b64 exec, exec, s[88:89]
	v_and_b32_e32 v8, 15, v45
	v_cndmask_b32_e64 v17, v46, v8, s[26:27]
	v_mov_b32_e32 v16, 0
	v_cmp_ne_u32_e32 vcc, 0, v17
	s_mov_b64 s[28:29], 0
                                        ; implicit-def: $vgpr18
                                        ; implicit-def: $vgpr30
	s_and_saveexec_b64 s[88:89], vcc
	s_cbranch_execz .LBB2_843
; %bb.836:                              ;   in Loop: Header=BB2_753 Depth=3
	v_sub_u32_e32 v4, v46, v8
	v_cndmask_b32_e64 v4, 0, v4, s[26:27]
	v_cmp_lt_i32_e32 vcc, 0, v49
	v_add_u32_e32 v16, v4, v48
	v_cndmask_b32_e32 v4, 0, v57, vcc
	v_sub_u32_e32 v4, v4, v49
	v_lshl_or_b32 v4, v4, 6, v58
	v_ashrrev_i32_e32 v5, 31, v4
	v_lshrrev_b32_e32 v5, 26, v5
	v_add_u32_e32 v5, v4, v5
	v_ashrrev_i32_e32 v6, 6, v5
	v_and_b32_e32 v5, 0xffffffc0, v5
	v_sub_u32_e32 v30, v4, v5
	v_lshlrev_b32_e32 v4, 4, v30
	v_lshl_add_u32 v8, v6, 10, v4
	v_ashrrev_i32_e32 v4, 31, v17
	v_lshrrev_b32_e32 v4, 22, v4
	v_add_u32_e32 v4, v17, v4
	v_and_b32_e32 v18, 0xfffffc00, v4
	v_sub_u32_e32 v48, v17, v18
	v_ashrrev_i32_e32 v5, 10, v4
	v_cmp_lt_i32_e64 s[26:27], 15, v48
	v_sub_u32_e32 v46, v17, v8
	v_addc_co_u32_e64 v4, vcc, 0, v5, s[26:27]
	v_sub_u32_e32 v49, v4, v6
	v_cmp_lt_i32_e32 vcc, 15, v46
	s_and_saveexec_b64 s[90:91], vcc
	s_cbranch_execz .LBB2_842
; %bb.837:                              ;   in Loop: Header=BB2_753 Depth=3
	v_add_u32_e32 v4, v8, v16
	v_ashrrev_i32_e32 v5, 31, v4
	v_add_co_u32_e32 v42, vcc, v4, v51
	v_addc_co_u32_e32 v43, vcc, v5, v52, vcc
	v_add_co_u32_e32 v59, vcc, v4, v53
	v_addc_co_u32_e32 v61, vcc, v5, v54, vcc
	;; [unrolled: 2-line block ×3, first 2 shown]
	s_mov_b64 s[92:93], 0
.LBB2_838:                              ;   Parent Loop BB2_47 Depth=1
                                        ;     Parent Loop BB2_750 Depth=2
                                        ;       Parent Loop BB2_753 Depth=3
                                        ; =>      This Loop Header: Depth=4
                                        ;           Child Loop BB2_839 Depth 5
	global_load_dwordx4 v[8:11], v[42:43], off glc slc
	s_mov_b64 s[94:95], -1
	s_mov_b64 s[30:31], 0
	s_waitcnt vmcnt(0)
.LBB2_839:                              ;   Parent Loop BB2_47 Depth=1
                                        ;     Parent Loop BB2_750 Depth=2
                                        ;       Parent Loop BB2_753 Depth=3
                                        ;         Parent Loop BB2_838 Depth=4
                                        ; =>        This Inner Loop Header: Depth=5
	s_cmp_eq_u32 s30, 1
	s_cselect_b64 s[28:29], -1, 0
	v_cndmask_b32_e64 v5, v61, v58, s[28:29]
	v_cndmask_b32_e64 v4, v59, v31, s[28:29]
	global_store_dwordx4 v[4:5], v[8:11], off glc slc
	v_add_co_u32_e32 v4, vcc, 0x400, v4
	s_cmp_eq_u32 s30, 0
	v_addc_co_u32_e32 v5, vcc, 0, v5, vcc
	s_cselect_b64 vcc, -1, 0
	s_and_b64 s[40:41], exec, s[94:95]
	s_mov_b64 s[30:31], 1
	v_cndmask_b32_e64 v31, v31, v4, s[28:29]
	s_mov_b64 s[94:95], 0
	v_cndmask_b32_e64 v58, v58, v5, s[28:29]
	v_cndmask_b32_e32 v61, v61, v5, vcc
	v_cndmask_b32_e32 v59, v59, v4, vcc
	s_mov_b64 vcc, s[40:41]
	s_cbranch_vccnz .LBB2_839
; %bb.840:                              ;   in Loop: Header=BB2_838 Depth=4
	v_add_co_u32_e32 v59, vcc, v59, v33
	v_addc_co_u32_e32 v61, vcc, v61, v0, vcc
	v_add_co_u32_e32 v31, vcc, v31, v33
	v_addc_co_u32_e32 v58, vcc, v58, v0, vcc
	;; [unrolled: 2-line block ×3, first 2 shown]
	v_sub_u32_e32 v46, v46, v14
	v_cmp_gt_i32_e32 vcc, 16, v46
	s_or_b64 s[92:93], vcc, s[92:93]
	v_sub_u32_e32 v49, v49, v57
	s_andn2_b64 exec, exec, s[92:93]
	s_cbranch_execnz .LBB2_838
; %bb.841:                              ;   in Loop: Header=BB2_753 Depth=3
	s_or_b64 exec, exec, s[92:93]
	buffer_load_dword v61, off, s[0:3], s33 offset:136 ; 4-byte Folded Reload
	buffer_load_dword v58, off, s[0:3], s33 offset:116 ; 4-byte Folded Reload
	v_ashrrev_i32_e32 v59, 31, v56
	v_mov_b32_e32 v43, 0xc8
	v_mov_b32_e32 v42, 0xd0
.LBB2_842:                              ;   in Loop: Header=BB2_753 Depth=3
	s_or_b64 exec, exec, s[90:91]
	v_and_b32_e32 v4, 15, v17
	v_sub_u32_e32 v5, v48, v4
	v_cndmask_b32_e64 v5, 0, v5, s[26:27]
	v_cmp_lt_i32_e32 vcc, 0, v49
	v_add3_u32 v16, v18, v16, v5
	v_cndmask_b32_e64 v18, v48, v4, s[26:27]
	v_cndmask_b32_e32 v4, 0, v57, vcc
	v_sub_u32_e32 v4, v4, v49
	v_cmp_ne_u32_e32 vcc, 0, v18
	v_lshl_add_u32 v30, v4, 6, v30
	s_and_b64 s[28:29], vcc, exec
.LBB2_843:                              ;   in Loop: Header=BB2_753 Depth=3
	s_or_b64 exec, exec, s[88:89]
	buffer_load_dword v46, off, s[0:3], s33 offset:96 ; 4-byte Folded Reload
	s_and_saveexec_b64 s[40:41], s[28:29]
	s_cbranch_execz .LBB2_854
.LBB2_844:                              ;   in Loop: Header=BB2_753 Depth=3
	v_ashrrev_i32_e32 v4, 31, v30
	v_lshrrev_b32_e32 v4, 26, v4
	v_add_u32_e32 v8, v30, v4
	v_ashrrev_i32_e32 v4, 31, v18
	v_lshrrev_b32_e32 v4, 23, v4
	v_add_u32_e32 v4, v18, v4
	v_ashrrev_i32_e32 v48, 6, v8
	v_ashrrev_i32_e32 v42, 9, v4
	v_sub_u32_e32 v49, v42, v48
	v_cmp_lt_i32_e32 vcc, 0, v49
	s_and_saveexec_b64 s[26:27], vcc
	s_cbranch_execz .LBB2_848
; %bb.845:                              ;   in Loop: Header=BB2_753 Depth=3
	v_and_b32_e32 v4, 0xffffffc0, v8
	v_sub_u32_e32 v4, v30, v4
	v_lshlrev_b32_e32 v5, 9, v48
	v_add3_u32 v4, v16, v4, v5
	v_ashrrev_i32_e32 v5, 31, v4
	v_add_co_u32_e32 v8, vcc, v4, v53
	v_addc_co_u32_e32 v9, vcc, v5, v54, vcc
	v_add_co_u32_e32 v10, vcc, v4, v40
	v_addc_co_u32_e32 v11, vcc, v5, v41, vcc
	;; [unrolled: 2-line block ×4, first 2 shown]
	s_mov_b64 s[28:29], 0
.LBB2_846:                              ;   Parent Loop BB2_47 Depth=1
                                        ;     Parent Loop BB2_750 Depth=2
                                        ;       Parent Loop BB2_753 Depth=3
                                        ; =>      This Inner Loop Header: Depth=4
	v_add_co_u32_e32 v4, vcc, 0xfffffe40, v40
	v_addc_co_u32_e32 v5, vcc, -1, v41, vcc
	flat_load_ubyte v6, v[4:5] glc slc
	v_add_co_u32_e32 v4, vcc, 0xfffffe80, v40
	v_addc_co_u32_e32 v5, vcc, -1, v41, vcc
	flat_load_ubyte v7, v[4:5] glc slc
	;; [unrolled: 3-line block ×7, first 2 shown]
	s_nop 0
	flat_load_ubyte v5, v[40:41] glc slc
	v_sub_u32_e32 v49, v49, v57
	s_waitcnt vmcnt(0) lgkmcnt(0)
	flat_store_byte v[8:9], v6 glc slc
	flat_store_byte v[8:9], v7 offset:64 glc slc
	flat_store_byte v[8:9], v17 offset:128 glc slc
	;; [unrolled: 1-line block ×7, first 2 shown]
	flat_store_byte v[10:11], v6 glc slc
	flat_store_byte v[10:11], v7 offset:64 glc slc
	flat_store_byte v[10:11], v17 offset:128 glc slc
	;; [unrolled: 1-line block ×7, first 2 shown]
	v_add_co_u32_e32 v8, vcc, v8, v15
	v_addc_co_u32_e32 v9, vcc, 0, v9, vcc
	v_add_co_u32_e32 v10, vcc, v10, v15
	v_addc_co_u32_e32 v11, vcc, 0, v11, vcc
	;; [unrolled: 2-line block ×3, first 2 shown]
	v_cmp_gt_i32_e32 vcc, 1, v49
	s_or_b64 s[28:29], vcc, s[28:29]
	s_andn2_b64 exec, exec, s[28:29]
	s_cbranch_execnz .LBB2_846
; %bb.847:                              ;   in Loop: Header=BB2_753 Depth=3
	s_or_b64 exec, exec, s[28:29]
	buffer_load_dword v34, off, s[0:3], s33 offset:76 ; 4-byte Folded Reload
	buffer_load_dword v35, off, s[0:3], s33 offset:80 ; 4-byte Folded Reload
	;; [unrolled: 1-line block ×4, first 2 shown]
	v_mov_b32_e32 v19, 0x90
.LBB2_848:                              ;   in Loop: Header=BB2_753 Depth=3
	s_or_b64 exec, exec, s[26:27]
	v_lshlrev_b32_e32 v8, 9, v42
	v_cmp_ne_u32_e32 vcc, v18, v8
	s_and_b64 s[26:27], exec, vcc
	v_mov_b32_e32 v42, 0xd0
	s_mov_b64 exec, s[26:27]
	s_cbranch_execz .LBB2_854
; %bb.849:                              ;   in Loop: Header=BB2_753 Depth=3
	v_lshlrev_b32_e32 v4, 6, v48
	v_sub_u32_e32 v4, v30, v4
	v_lshlrev_b32_e32 v5, 6, v49
	v_sub_u32_e32 v4, v4, v5
	v_add_u32_e32 v8, v8, v4
	v_sub_u32_e32 v10, v18, v8
	v_cmp_lt_i32_e32 vcc, 0, v10
	s_and_b64 exec, exec, vcc
	s_cbranch_execz .LBB2_854
; %bb.850:                              ;   in Loop: Header=BB2_753 Depth=3
	s_trap 2
	ds_read_b64 v[4:5], v0
	v_add_u32_e32 v17, v8, v16
	v_ashrrev_i32_e32 v18, 31, v17
	s_mov_b64 s[88:89], 0
	s_waitcnt lgkmcnt(0)
	v_add_co_u32_e32 v8, vcc, v4, v17
	v_addc_co_u32_e32 v9, vcc, v5, v18, vcc
	ds_read_b128 v[4:7], v0
	s_waitcnt lgkmcnt(0)
	v_add_co_u32_e32 v11, vcc, v4, v17
	v_addc_co_u32_e32 v16, vcc, v5, v18, vcc
	v_add_co_u32_e32 v17, vcc, v6, v17
	v_addc_co_u32_e32 v18, vcc, v7, v18, vcc
.LBB2_851:                              ;   Parent Loop BB2_47 Depth=1
                                        ;     Parent Loop BB2_750 Depth=2
                                        ;       Parent Loop BB2_753 Depth=3
                                        ; =>      This Loop Header: Depth=4
                                        ;           Child Loop BB2_852 Depth 5
	flat_load_ubyte v30, v[8:9] glc slc
	s_mov_b64 s[90:91], -1
	s_mov_b64 s[92:93], 0
	s_waitcnt vmcnt(0)
.LBB2_852:                              ;   Parent Loop BB2_47 Depth=1
                                        ;     Parent Loop BB2_750 Depth=2
                                        ;       Parent Loop BB2_753 Depth=3
                                        ;         Parent Loop BB2_851 Depth=4
                                        ; =>        This Inner Loop Header: Depth=5
	s_cmp_eq_u32 s92, 1
	s_cselect_b64 vcc, -1, 0
	v_cndmask_b32_e32 v5, v16, v18, vcc
	v_cndmask_b32_e32 v4, v11, v17, vcc
	s_waitcnt lgkmcnt(0)
	flat_store_byte v[4:5], v30 glc slc
	v_add_co_u32_e64 v4, s[26:27], 64, v4
	s_cmp_eq_u32 s92, 0
	v_addc_co_u32_e64 v5, s[26:27], 0, v5, s[26:27]
	s_cselect_b64 s[26:27], -1, 0
	s_and_b64 s[28:29], exec, s[90:91]
	s_mov_b64 s[92:93], 1
	s_mov_b64 s[90:91], 0
	v_cndmask_b32_e32 v18, v18, v5, vcc
	v_cndmask_b32_e32 v17, v17, v4, vcc
	v_cndmask_b32_e64 v16, v16, v5, s[26:27]
	v_cndmask_b32_e64 v11, v11, v4, s[26:27]
	s_mov_b64 vcc, s[28:29]
	s_cbranch_vccnz .LBB2_852
; %bb.853:                              ;   in Loop: Header=BB2_851 Depth=4
	buffer_load_dword v5, off, s[0:3], s33 offset:60 ; 4-byte Folded Reload
	v_subrev_u32_e32 v4, 64, v60
	v_add_co_u32_e32 v11, vcc, v11, v4
	v_sub_u32_e32 v10, v10, v60
	s_waitcnt vmcnt(0)
	v_addc_co_u32_e32 v16, vcc, v16, v5, vcc
	v_add_co_u32_e32 v17, vcc, v17, v4
	buffer_load_dword v4, off, s[0:3], s33 offset:64 ; 4-byte Folded Reload
	v_addc_co_u32_e32 v18, vcc, v18, v5, vcc
	v_cmp_gt_i32_e32 vcc, 1, v10
	s_or_b64 s[88:89], vcc, s[88:89]
	s_waitcnt vmcnt(0)
	v_add_co_u32_e32 v8, vcc, v4, v8
	v_addc_co_u32_e32 v9, vcc, v32, v9, vcc
	s_andn2_b64 exec, exec, s[88:89]
	s_cbranch_execnz .LBB2_851
.LBB2_854:                              ;   in Loop: Header=BB2_753 Depth=3
	s_or_b64 exec, exec, s[40:41]
	s_mov_b64 s[26:27], 0
	v_lshlrev_b32_e32 v49, 11, v57
.LBB2_855:                              ;   in Loop: Header=BB2_753 Depth=3
	s_and_b64 vcc, exec, s[26:27]
	s_cbranch_vccz .LBB2_882
; %bb.856:                              ;   in Loop: Header=BB2_753 Depth=3
	s_mov_b64 s[26:27], -1
	s_and_saveexec_b64 s[28:29], s[20:21]
	s_cbranch_execz .LBB2_858
; %bb.857:                              ;   in Loop: Header=BB2_753 Depth=3
	ds_read_b32 v4, v0 offset:720
	s_waitcnt lgkmcnt(0)
	v_and_b32_e32 v4, 15, v4
	v_cmp_eq_u32_e32 vcc, 0, v4
	s_orn2_b64 s[26:27], vcc, exec
.LBB2_858:                              ;   in Loop: Header=BB2_753 Depth=3
	s_or_b64 exec, exec, s[28:29]
	s_and_saveexec_b64 s[28:29], s[18:19]
	s_cbranch_execz .LBB2_860
; %bb.859:                              ;   in Loop: Header=BB2_753 Depth=3
	ds_read_b32 v4, v0 offset:784
	s_waitcnt lgkmcnt(0)
	v_and_b32_e32 v4, 15, v4
	v_cmp_eq_u32_e32 vcc, 0, v4
	s_and_b64 s[40:41], s[26:27], vcc
	s_andn2_b64 s[26:27], s[26:27], exec
	s_and_b64 s[40:41], s[40:41], exec
	s_or_b64 s[26:27], s[26:27], s[40:41]
.LBB2_860:                              ;   in Loop: Header=BB2_753 Depth=3
	s_or_b64 exec, exec, s[28:29]
	s_xor_b64 s[26:27], s[26:27], -1
	v_cndmask_b32_e64 v4, 0, 1, s[26:27]
	s_mov_b64 s[40:41], -1
	v_mov_b32_e32 v8, 0
	v_cmp_ne_u32_e32 vcc, 0, v4
	v_mov_b32_e32 v9, v45
	s_waitcnt vmcnt(0)
	v_mov_b32_e32 v10, v61
	s_cbranch_vccz .LBB2_862
; %bb.861:                              ;   in Loop: Header=BB2_753 Depth=3
	s_and_saveexec_b64 s[26:27], s[40:41]
	s_cbranch_execnz .LBB2_873
	s_branch .LBB2_881
.LBB2_862:                              ;   in Loop: Header=BB2_753 Depth=3
	v_ashrrev_i32_e32 v4, 31, v45
	v_lshrrev_b32_e32 v4, 21, v4
	v_add_u32_e32 v4, v45, v4
	v_ashrrev_i32_e32 v10, 11, v4
	buffer_load_dword v4, off, s[0:3], s33 offset:92 ; 4-byte Folded Reload
	s_waitcnt vmcnt(0)
	v_sub_u32_e32 v16, v10, v4
	v_cmp_lt_i32_e32 vcc, 0, v16
	s_and_saveexec_b64 s[26:27], vcc
	s_cbranch_execz .LBB2_866
; %bb.863:                              ;   in Loop: Header=BB2_753 Depth=3
	buffer_load_dword v8, off, s[0:3], s33 offset:120 ; 4-byte Folded Reload
	buffer_load_dword v9, off, s[0:3], s33 offset:124 ; 4-byte Folded Reload
	s_mov_b64 s[28:29], 0
.LBB2_864:                              ;   Parent Loop BB2_47 Depth=1
                                        ;     Parent Loop BB2_750 Depth=2
                                        ;       Parent Loop BB2_753 Depth=3
                                        ; =>      This Inner Loop Header: Depth=4
	s_waitcnt vmcnt(0)
	v_add_co_u32_e32 v17, vcc, v51, v8
	v_addc_co_u32_e32 v18, vcc, v52, v9, vcc
	global_load_dwordx4 v[4:7], v[17:18], off glc slc
	global_load_dwordx4 v[34:37], v[17:18], off offset:1024 glc slc
	v_add_co_u32_e32 v17, vcc, v53, v8
	v_addc_co_u32_e32 v18, vcc, v54, v9, vcc
	v_add_co_u32_e32 v8, vcc, v8, v49
	v_sub_u32_e32 v16, v16, v57
	v_addc_co_u32_e32 v9, vcc, 0, v9, vcc
	v_cmp_gt_i32_e32 vcc, 1, v16
	s_or_b64 s[28:29], vcc, s[28:29]
	s_waitcnt vmcnt(0)
	global_store_dwordx4 v[17:18], v[4:7], off glc slc
	global_store_dwordx4 v[17:18], v[34:37], off offset:1024 glc slc
	s_andn2_b64 exec, exec, s[28:29]
	s_cbranch_execnz .LBB2_864
; %bb.865:                              ;   in Loop: Header=BB2_753 Depth=3
	s_or_b64 exec, exec, s[28:29]
	buffer_load_dword v34, off, s[0:3], s33 offset:76 ; 4-byte Folded Reload
	buffer_load_dword v35, off, s[0:3], s33 offset:80 ; 4-byte Folded Reload
	;; [unrolled: 1-line block ×4, first 2 shown]
.LBB2_866:                              ;   in Loop: Header=BB2_753 Depth=3
	s_or_b64 exec, exec, s[26:27]
	v_lshlrev_b32_e32 v11, 11, v10
	v_cmp_ne_u32_e32 vcc, v45, v11
	s_mov_b64 s[40:41], 0
	v_mov_b32_e32 v8, 0
                                        ; implicit-def: $vgpr9
                                        ; implicit-def: $vgpr10
	s_and_saveexec_b64 s[28:29], vcc
	s_cbranch_execz .LBB2_872
; %bb.867:                              ;   in Loop: Header=BB2_753 Depth=3
	v_lshlrev_b32_e32 v5, 6, v16
	v_sub_u32_e32 v5, v58, v5
	v_ashrrev_i32_e32 v6, 31, v5
	v_lshrrev_b32_e32 v6, 26, v6
	v_add_u32_e32 v6, v5, v6
	v_ashrrev_i32_e32 v7, 6, v6
	v_and_b32_e32 v6, 0xffffffc0, v6
	v_sub_u32_e32 v10, v5, v6
	v_sub_u32_e32 v4, v45, v11
	v_lshlrev_b32_e32 v5, 4, v10
	v_lshl_add_u32 v18, v7, 10, v5
	v_ashrrev_i32_e32 v5, 31, v4
	v_lshrrev_b32_e32 v5, 22, v5
	v_add_u32_e32 v5, v4, v5
	v_and_b32_e32 v8, 0xfffffc00, v5
	v_sub_u32_e32 v9, v4, v8
	v_ashrrev_i32_e32 v6, 10, v5
	v_cmp_lt_i32_e32 vcc, 15, v9
	v_sub_u32_e32 v17, v4, v18
	v_addc_co_u32_e64 v4, s[26:27], 0, v6, vcc
	v_sub_u32_e32 v16, v4, v7
	v_cmp_lt_i32_e64 s[26:27], 15, v17
	s_and_saveexec_b64 s[40:41], s[26:27]
	s_cbranch_execz .LBB2_871
; %bb.868:                              ;   in Loop: Header=BB2_753 Depth=3
	v_add_u32_e32 v18, v18, v11
	v_ashrrev_i32_e32 v30, 31, v18
	s_mov_b64 s[88:89], 0
.LBB2_869:                              ;   Parent Loop BB2_47 Depth=1
                                        ;     Parent Loop BB2_750 Depth=2
                                        ;       Parent Loop BB2_753 Depth=3
                                        ; =>      This Inner Loop Header: Depth=4
	v_add_co_u32_e64 v4, s[26:27], v51, v18
	v_addc_co_u32_e64 v5, s[26:27], v52, v30, s[26:27]
	global_load_dwordx4 v[4:7], v[4:5], off glc slc
	s_waitcnt vmcnt(0)
	v_add_co_u32_e64 v34, s[26:27], v53, v18
	v_addc_co_u32_e64 v35, s[26:27], v54, v30, s[26:27]
	v_add_co_u32_e64 v18, s[26:27], v18, v14
	v_sub_u32_e32 v17, v17, v14
	v_addc_co_u32_e64 v30, s[26:27], 0, v30, s[26:27]
	v_cmp_gt_i32_e64 s[26:27], 16, v17
	v_sub_u32_e32 v16, v16, v57
	s_or_b64 s[88:89], s[26:27], s[88:89]
	global_store_dwordx4 v[34:35], v[4:7], off glc slc
	s_andn2_b64 exec, exec, s[88:89]
	s_cbranch_execnz .LBB2_869
; %bb.870:                              ;   in Loop: Header=BB2_753 Depth=3
	s_or_b64 exec, exec, s[88:89]
	buffer_load_dword v34, off, s[0:3], s33 offset:76 ; 4-byte Folded Reload
	buffer_load_dword v35, off, s[0:3], s33 offset:80 ; 4-byte Folded Reload
	;; [unrolled: 1-line block ×4, first 2 shown]
.LBB2_871:                              ;   in Loop: Header=BB2_753 Depth=3
	s_or_b64 exec, exec, s[40:41]
	v_and_b32_e32 v4, 15, v45
	v_sub_u32_e32 v5, v9, v4
	v_cndmask_b32_e32 v5, 0, v5, vcc
	v_cndmask_b32_e32 v9, v9, v4, vcc
	v_cmp_lt_i32_e32 vcc, 0, v16
	v_cndmask_b32_e32 v4, 0, v57, vcc
	v_sub_u32_e32 v4, v4, v16
	v_cmp_ne_u32_e32 vcc, 0, v9
	v_add3_u32 v8, v8, v11, v5
	v_lshl_add_u32 v10, v4, 6, v10
	s_and_b64 s[40:41], vcc, exec
.LBB2_872:                              ;   in Loop: Header=BB2_753 Depth=3
	s_or_b64 exec, exec, s[28:29]
	s_and_saveexec_b64 s[26:27], s[40:41]
	s_cbranch_execz .LBB2_881
.LBB2_873:                              ;   in Loop: Header=BB2_753 Depth=3
	v_ashrrev_i32_e32 v4, 31, v10
	v_lshrrev_b32_e32 v4, 26, v4
	v_add_u32_e32 v18, v10, v4
	v_ashrrev_i32_e32 v4, 31, v9
	v_lshrrev_b32_e32 v4, 23, v4
	v_add_u32_e32 v4, v9, v4
	v_ashrrev_i32_e32 v11, 6, v18
	v_ashrrev_i32_e32 v17, 9, v4
	v_sub_u32_e32 v16, v17, v11
	v_cmp_lt_i32_e32 vcc, 0, v16
	s_and_saveexec_b64 s[28:29], vcc
	s_cbranch_execz .LBB2_877
; %bb.874:                              ;   in Loop: Header=BB2_753 Depth=3
	v_and_b32_e32 v4, 0xffffffc0, v18
	v_sub_u32_e32 v4, v10, v4
	v_lshlrev_b32_e32 v5, 9, v11
	v_add3_u32 v18, v8, v4, v5
	v_ashrrev_i32_e32 v30, 31, v18
	s_mov_b64 s[40:41], 0
.LBB2_875:                              ;   Parent Loop BB2_47 Depth=1
                                        ;     Parent Loop BB2_750 Depth=2
                                        ;       Parent Loop BB2_753 Depth=3
                                        ; =>      This Inner Loop Header: Depth=4
	v_add_co_u32_e32 v4, vcc, v18, v51
	v_addc_co_u32_e32 v5, vcc, v30, v52, vcc
	flat_load_ubyte v6, v[4:5] glc slc
	flat_load_ubyte v7, v[4:5] offset:64 glc slc
	flat_load_ubyte v19, v[4:5] offset:128 glc slc
	;; [unrolled: 1-line block ×3, first 2 shown]
	s_waitcnt vmcnt(0)
	flat_load_ubyte v34, v[4:5] offset:256 glc slc
	flat_load_ubyte v35, v[4:5] offset:320 glc slc
	flat_load_ubyte v36, v[4:5] offset:384 glc slc
	flat_load_ubyte v37, v[4:5] offset:448 glc slc
	v_add_co_u32_e32 v4, vcc, v18, v53
	v_addc_co_u32_e32 v5, vcc, v30, v54, vcc
	v_add_co_u32_e32 v51, vcc, v51, v15
	v_addc_co_u32_e32 v52, vcc, 0, v52, vcc
	v_add_co_u32_e32 v53, vcc, v53, v15
	v_sub_u32_e32 v16, v16, v57
	v_addc_co_u32_e32 v54, vcc, 0, v54, vcc
	v_cmp_gt_i32_e32 vcc, 1, v16
	s_or_b64 s[40:41], vcc, s[40:41]
	s_waitcnt lgkmcnt(0)
	flat_store_byte v[4:5], v6 glc slc
	flat_store_byte v[4:5], v7 offset:64 glc slc
	flat_store_byte v[4:5], v19 offset:128 glc slc
	;; [unrolled: 1-line block ×3, first 2 shown]
	s_waitcnt vmcnt(0)
	flat_store_byte v[4:5], v34 offset:256 glc slc
	flat_store_byte v[4:5], v35 offset:320 glc slc
	;; [unrolled: 1-line block ×4, first 2 shown]
	s_andn2_b64 exec, exec, s[40:41]
	s_cbranch_execnz .LBB2_875
; %bb.876:                              ;   in Loop: Header=BB2_753 Depth=3
	s_or_b64 exec, exec, s[40:41]
	buffer_load_dword v34, off, s[0:3], s33 offset:76 ; 4-byte Folded Reload
	buffer_load_dword v35, off, s[0:3], s33 offset:80 ; 4-byte Folded Reload
	;; [unrolled: 1-line block ×4, first 2 shown]
	v_mov_b32_e32 v19, 0x90
.LBB2_877:                              ;   in Loop: Header=BB2_753 Depth=3
	s_or_b64 exec, exec, s[28:29]
	v_lshlrev_b32_e32 v17, 9, v17
	v_cmp_ne_u32_e32 vcc, v9, v17
	s_and_b64 exec, exec, vcc
	s_cbranch_execz .LBB2_881
; %bb.878:                              ;   in Loop: Header=BB2_753 Depth=3
	v_lshlrev_b32_e32 v4, 6, v11
	v_sub_u32_e32 v4, v10, v4
	v_lshlrev_b32_e32 v5, 6, v16
	v_sub_u32_e32 v4, v4, v5
	v_add_u32_e32 v11, v17, v4
	v_sub_u32_e32 v10, v9, v11
	v_cmp_lt_i32_e32 vcc, 0, v10
	s_and_b64 exec, exec, vcc
	s_cbranch_execz .LBB2_881
; %bb.879:                              ;   in Loop: Header=BB2_753 Depth=3
	v_add_u32_e32 v11, v11, v8
	s_trap 2
	ds_read_b64 v[8:9], v0
	v_ashrrev_i32_e32 v16, 31, v11
	s_mov_b64 s[28:29], 0
.LBB2_880:                              ;   Parent Loop BB2_47 Depth=1
                                        ;     Parent Loop BB2_750 Depth=2
                                        ;       Parent Loop BB2_753 Depth=3
                                        ; =>      This Inner Loop Header: Depth=4
	s_waitcnt lgkmcnt(0)
	v_add_co_u32_e32 v4, vcc, v8, v11
	v_addc_co_u32_e32 v5, vcc, v9, v16, vcc
	flat_load_ubyte v6, v[4:5] glc slc
	v_add_co_u32_e32 v11, vcc, v11, v60
	v_sub_u32_e32 v10, v10, v60
	v_addc_co_u32_e32 v16, vcc, 0, v16, vcc
	v_cmp_gt_i32_e32 vcc, 1, v10
	s_or_b64 s[28:29], vcc, s[28:29]
	s_waitcnt vmcnt(0) lgkmcnt(0)
	flat_store_byte v[4:5], v6 glc slc
	s_andn2_b64 exec, exec, s[28:29]
	s_cbranch_execnz .LBB2_880
.LBB2_881:                              ;   in Loop: Header=BB2_753 Depth=3
	s_or_b64 exec, exec, s[26:27]
.LBB2_882:                              ;   in Loop: Header=BB2_753 Depth=3
	v_cmp_lt_i32_e64 s[26:27], 0, v45
	s_and_saveexec_b64 s[28:29], s[10:11]
	s_cbranch_execz .LBB2_901
.LBB2_883:                              ;   in Loop: Header=BB2_753 Depth=3
	s_and_saveexec_b64 s[40:41], s[56:57]
	s_xor_b64 s[40:41], exec, s[40:41]
	s_cbranch_execz .LBB2_898
; %bb.884:                              ;   in Loop: Header=BB2_753 Depth=3
	s_and_saveexec_b64 s[88:89], s[16:17]
	s_cbranch_execz .LBB2_897
; %bb.885:                              ;   in Loop: Header=BB2_753 Depth=3
	s_mov_b64 s[92:93], exec
	v_mbcnt_lo_u32_b32 v4, s92, 0
	v_mbcnt_hi_u32_b32 v4, s93, v4
	v_cmp_eq_u32_e32 vcc, 0, v4
	s_waitcnt vmcnt(0) lgkmcnt(0)
	buffer_wbinvl1_vol
	s_and_saveexec_b64 s[90:91], vcc
	s_cbranch_execz .LBB2_887
; %bb.886:                              ;   in Loop: Header=BB2_753 Depth=3
	s_bcnt1_i32_b64 s92, s[92:93]
	v_mov_b32_e32 v4, s92
	v_mov_b32_e32 v5, v2
	ds_add_u64 v0, v[4:5]
	s_trap 2
.LBB2_887:                              ;   in Loop: Header=BB2_753 Depth=3
	s_or_b64 exec, exec, s[90:91]
	s_trap 2
	ds_read_b64 v[4:5], v0
	s_waitcnt lgkmcnt(0)
	v_add_co_u32_e32 v12, vcc, v12, v57
	v_addc_co_u32_e32 v13, vcc, 0, v13, vcc
	v_cmp_lt_u64_e32 vcc, v[4:5], v[12:13]
	s_and_saveexec_b64 s[90:91], vcc
	s_cbranch_execz .LBB2_896
; %bb.888:                              ;   in Loop: Header=BB2_753 Depth=3
	s_mov_b32 s38, 0
	s_mov_b64 s[92:93], 0
                                        ; implicit-def: $sgpr94_sgpr95
                                        ; implicit-def: $sgpr30_sgpr31
	s_branch .LBB2_890
.LBB2_889:                              ;   in Loop: Header=BB2_890 Depth=4
	s_or_b64 exec, exec, s[36:37]
	s_and_b64 vcc, exec, vcc
	s_or_b64 s[92:93], vcc, s[92:93]
	s_andn2_b64 s[94:95], s[94:95], exec
	s_and_b64 vcc, s[30:31], exec
	s_or_b64 s[94:95], s[94:95], vcc
	s_andn2_b64 exec, exec, s[92:93]
	s_cbranch_execz .LBB2_894
.LBB2_890:                              ;   Parent Loop BB2_47 Depth=1
                                        ;     Parent Loop BB2_750 Depth=2
                                        ;       Parent Loop BB2_753 Depth=3
                                        ; =>      This Inner Loop Header: Depth=4
	s_add_i32 s38, s38, 1
	s_cmpk_lg_i32 s38, 0x2710
	s_cselect_b64 s[34:35], -1, 0
	s_and_b64 vcc, exec, s[34:35]
	s_cbranch_vccz .LBB2_892
; %bb.891:                              ;   in Loop: Header=BB2_890 Depth=4
	s_mov_b64 vcc, -1
	s_or_b64 s[30:31], s[30:31], exec
	s_and_saveexec_b64 s[36:37], s[34:35]
	s_cbranch_execz .LBB2_889
	s_branch .LBB2_893
.LBB2_892:                              ;   in Loop: Header=BB2_890 Depth=4
	s_trap 2
	ds_read_b64 v[4:5], v0
	s_andn2_b64 s[34:35], s[34:35], exec
	s_mov_b32 s38, 0
	s_waitcnt lgkmcnt(0)
	flat_load_dword v4, v[4:5] glc
	s_waitcnt vmcnt(0) lgkmcnt(0)
	buffer_wbinvl1_vol
	v_cmp_eq_u32_e32 vcc, 0, v4
	s_and_b64 vcc, vcc, exec
	s_or_b64 s[34:35], s[34:35], vcc
	s_mov_b64 vcc, -1
	s_or_b64 s[30:31], s[30:31], exec
	s_and_saveexec_b64 s[36:37], s[34:35]
	s_cbranch_execz .LBB2_889
.LBB2_893:                              ;   in Loop: Header=BB2_890 Depth=4
	s_sleep 1
	s_trap 2
	ds_read_b64 v[4:5], v0
	s_waitcnt lgkmcnt(0)
	s_andn2_b64 s[30:31], s[30:31], exec
	v_cmp_ge_u64_e32 vcc, v[4:5], v[12:13]
	s_orn2_b64 vcc, vcc, exec
	s_branch .LBB2_889
.LBB2_894:                              ;   in Loop: Header=BB2_753 Depth=3
	s_or_b64 exec, exec, s[92:93]
	s_and_saveexec_b64 s[92:93], s[94:95]
	s_xor_b64 s[92:93], exec, s[92:93]
	s_cbranch_execz .LBB2_896
; %bb.895:                              ;   in Loop: Header=BB2_753 Depth=3
	ds_write_b32 v0, v62
	s_trap 2
.LBB2_896:                              ;   in Loop: Header=BB2_753 Depth=3
	s_or_b64 exec, exec, s[90:91]
	;;#ASMSTART
	s_wakeup
	;;#ASMEND
.LBB2_897:                              ;   in Loop: Header=BB2_753 Depth=3
	s_or_b64 exec, exec, s[88:89]
.LBB2_898:                              ;   in Loop: Header=BB2_753 Depth=3
	s_andn2_saveexec_b64 s[40:41], s[40:41]
	s_cbranch_execz .LBB2_900
; %bb.899:                              ;   in Loop: Header=BB2_753 Depth=3
	s_waitcnt vmcnt(0) lgkmcnt(0)
	buffer_wbinvl1_vol
	s_barrier
.LBB2_900:                              ;   in Loop: Header=BB2_753 Depth=3
	s_or_b64 exec, exec, s[40:41]
.LBB2_901:                              ;   in Loop: Header=BB2_753 Depth=3
	s_or_b64 exec, exec, s[28:29]
	v_and_b32_e32 v8, 16, v47
	s_and_saveexec_b64 s[28:29], s[24:25]
	s_xor_b64 s[28:29], exec, s[28:29]
	s_cbranch_execz .LBB2_905
; %bb.902:                              ;   in Loop: Header=BB2_753 Depth=3
	v_and_b32_e32 v4, 16, v47
	v_cmp_ne_u32_e32 vcc, 0, v4
	v_and_b32_e32 v8, 16, v47
	s_and_b64 s[40:41], vcc, s[26:27]
	s_and_saveexec_b64 s[26:27], s[40:41]
	s_cbranch_execz .LBB2_904
; %bb.903:                              ;   in Loop: Header=BB2_753 Depth=3
	v_mov_b32_e32 v8, 1
	s_waitcnt vmcnt(0) lgkmcnt(0)
	buffer_wbinvl1_vol
.LBB2_904:                              ;   in Loop: Header=BB2_753 Depth=3
	s_or_b64 exec, exec, s[26:27]
.LBB2_905:                              ;   in Loop: Header=BB2_753 Depth=3
	s_andn2_saveexec_b64 s[26:27], s[28:29]
	s_cbranch_execz .LBB2_924
; %bb.906:                              ;   in Loop: Header=BB2_753 Depth=3
	s_and_saveexec_b64 s[28:29], s[56:57]
	s_xor_b64 s[28:29], exec, s[28:29]
	s_cbranch_execz .LBB2_921
; %bb.907:                              ;   in Loop: Header=BB2_753 Depth=3
	s_and_saveexec_b64 s[40:41], s[16:17]
	s_cbranch_execz .LBB2_920
; %bb.908:                              ;   in Loop: Header=BB2_753 Depth=3
	s_mov_b64 s[90:91], exec
	v_mbcnt_lo_u32_b32 v4, s90, 0
	v_mbcnt_hi_u32_b32 v4, s91, v4
	v_cmp_eq_u32_e32 vcc, 0, v4
	;;#ASMSTART
	s_waitcnt lgkmcnt(0) vmcnt(0)
	;;#ASMEND
	s_and_saveexec_b64 s[88:89], vcc
	s_cbranch_execz .LBB2_910
; %bb.909:                              ;   in Loop: Header=BB2_753 Depth=3
	s_bcnt1_i32_b64 s90, s[90:91]
	v_mov_b32_e32 v4, s90
	v_mov_b32_e32 v5, v2
	s_waitcnt lgkmcnt(0)
	ds_add_u64 v0, v[4:5]
	s_trap 2
.LBB2_910:                              ;   in Loop: Header=BB2_753 Depth=3
	s_or_b64 exec, exec, s[88:89]
	s_trap 2
	ds_read_b64 v[4:5], v0
	s_waitcnt lgkmcnt(0)
	v_add_co_u32_e32 v12, vcc, v12, v57
	v_addc_co_u32_e32 v13, vcc, 0, v13, vcc
	v_cmp_lt_u64_e32 vcc, v[4:5], v[12:13]
	s_and_saveexec_b64 s[88:89], vcc
	s_cbranch_execz .LBB2_919
; %bb.911:                              ;   in Loop: Header=BB2_753 Depth=3
	s_mov_b32 s36, 0
	s_mov_b64 s[90:91], 0
                                        ; implicit-def: $sgpr92_sgpr93
                                        ; implicit-def: $sgpr94_sgpr95
	s_branch .LBB2_913
.LBB2_912:                              ;   in Loop: Header=BB2_913 Depth=4
	s_or_b64 exec, exec, s[34:35]
	s_and_b64 vcc, exec, vcc
	s_or_b64 s[90:91], vcc, s[90:91]
	s_andn2_b64 s[92:93], s[92:93], exec
	s_and_b64 vcc, s[94:95], exec
	s_or_b64 s[92:93], s[92:93], vcc
	s_andn2_b64 exec, exec, s[90:91]
	s_cbranch_execz .LBB2_917
.LBB2_913:                              ;   Parent Loop BB2_47 Depth=1
                                        ;     Parent Loop BB2_750 Depth=2
                                        ;       Parent Loop BB2_753 Depth=3
                                        ; =>      This Inner Loop Header: Depth=4
	s_add_i32 s36, s36, 1
	s_cmpk_lg_i32 s36, 0x2710
	s_cselect_b64 s[30:31], -1, 0
	s_and_b64 vcc, exec, s[30:31]
	s_cbranch_vccz .LBB2_915
; %bb.914:                              ;   in Loop: Header=BB2_913 Depth=4
	s_mov_b64 vcc, -1
	s_or_b64 s[94:95], s[94:95], exec
	s_and_saveexec_b64 s[34:35], s[30:31]
	s_cbranch_execz .LBB2_912
	s_branch .LBB2_916
.LBB2_915:                              ;   in Loop: Header=BB2_913 Depth=4
	s_trap 2
	ds_read_b64 v[4:5], v0
	s_andn2_b64 s[30:31], s[30:31], exec
	s_mov_b32 s36, 0
	s_waitcnt vmcnt(0) lgkmcnt(0)
	flat_load_dword v4, v[4:5] glc
	s_waitcnt vmcnt(0) lgkmcnt(0)
	buffer_wbinvl1_vol
	v_cmp_eq_u32_e32 vcc, 0, v4
	s_and_b64 vcc, vcc, exec
	s_or_b64 s[30:31], s[30:31], vcc
	s_mov_b64 vcc, -1
	s_or_b64 s[94:95], s[94:95], exec
	s_and_saveexec_b64 s[34:35], s[30:31]
	s_cbranch_execz .LBB2_912
.LBB2_916:                              ;   in Loop: Header=BB2_913 Depth=4
	s_sleep 1
	s_trap 2
	ds_read_b64 v[4:5], v0
	s_waitcnt lgkmcnt(0)
	s_andn2_b64 s[94:95], s[94:95], exec
	v_cmp_ge_u64_e32 vcc, v[4:5], v[12:13]
	s_orn2_b64 vcc, vcc, exec
	s_branch .LBB2_912
.LBB2_917:                              ;   in Loop: Header=BB2_753 Depth=3
	s_or_b64 exec, exec, s[90:91]
	s_and_saveexec_b64 s[90:91], s[92:93]
	s_xor_b64 s[90:91], exec, s[90:91]
	s_cbranch_execz .LBB2_919
; %bb.918:                              ;   in Loop: Header=BB2_753 Depth=3
	ds_write_b32 v0, v62
	s_trap 2
.LBB2_919:                              ;   in Loop: Header=BB2_753 Depth=3
	s_or_b64 exec, exec, s[88:89]
	;;#ASMSTART
	s_wakeup
	;;#ASMEND
.LBB2_920:                              ;   in Loop: Header=BB2_753 Depth=3
	s_or_b64 exec, exec, s[40:41]
.LBB2_921:                              ;   in Loop: Header=BB2_753 Depth=3
	s_andn2_saveexec_b64 s[28:29], s[28:29]
	s_cbranch_execz .LBB2_923
; %bb.922:                              ;   in Loop: Header=BB2_753 Depth=3
	;;#ASMSTART
	s_waitcnt lgkmcnt(0) vmcnt(0)
	;;#ASMEND
	s_waitcnt vmcnt(0) lgkmcnt(0)
	s_barrier
.LBB2_923:                              ;   in Loop: Header=BB2_753 Depth=3
	s_or_b64 exec, exec, s[28:29]
.LBB2_924:                              ;   in Loop: Header=BB2_753 Depth=3
	s_or_b64 exec, exec, s[26:27]
	v_cmp_ne_u32_e32 vcc, 0, v8
	s_xor_b64 s[26:27], s[12:13], -1
	s_and_b64 s[28:29], vcc, s[26:27]
	s_and_saveexec_b64 s[26:27], s[28:29]
	s_cbranch_execz .LBB2_926
; %bb.925:                              ;   in Loop: Header=BB2_753 Depth=3
	flat_store_dword v[24:25], v62
.LBB2_926:                              ;   in Loop: Header=BB2_753 Depth=3
	s_or_b64 exec, exec, s[26:27]
	v_and_b32_e32 v4, 48, v47
	v_cmp_ne_u32_e32 vcc, 0, v4
	s_and_saveexec_b64 s[26:27], vcc
	s_cbranch_execz .LBB2_752
; %bb.927:                              ;   in Loop: Header=BB2_753 Depth=3
	v_add_co_u32_e32 v38, vcc, 2, v38
	v_addc_co_u32_e32 v39, vcc, 0, v39, vcc
	flat_store_dwordx2 v[20:21], v[38:39]
	s_branch .LBB2_752
.LBB2_928:                              ;   in Loop: Header=BB2_750 Depth=2
	s_or_b64 exec, exec, s[42:43]
	v_cmp_gt_i32_e32 vcc, 2, v10
	s_and_saveexec_b64 s[28:29], vcc
	s_cbranch_execz .LBB2_1004
.LBB2_929:                              ;   in Loop: Header=BB2_750 Depth=2
	v_cmp_eq_u32_e64 s[42:43], 0, v10
	s_mov_b64 s[40:41], 0
	s_branch .LBB2_931
.LBB2_930:                              ;   in Loop: Header=BB2_931 Depth=3
	s_or_b64 exec, exec, s[26:27]
	v_add_u32_e32 v3, v50, v3
	s_mov_b64 s[42:43], 0
	s_andn2_b64 exec, exec, s[40:41]
	s_cbranch_execz .LBB2_1005
.LBB2_931:                              ;   Parent Loop BB2_47 Depth=1
                                        ;     Parent Loop BB2_750 Depth=2
                                        ; =>    This Loop Header: Depth=3
                                        ;         Child Loop BB2_937 Depth 4
                                        ;         Child Loop BB2_965 Depth 4
	;; [unrolled: 1-line block ×3, first 2 shown]
	v_sub_u32_e32 v4, v1, v3
	v_min_i32_e32 v50, v50, v4
	v_and_b32_e32 v4, 12, v47
	v_cmp_ne_u32_e32 vcc, 0, v4
	s_and_saveexec_b64 s[76:77], vcc
	s_cbranch_execz .LBB2_957
; %bb.932:                              ;   in Loop: Header=BB2_931 Depth=3
	v_and_b32_e32 v16, 8, v47
	s_waitcnt vmcnt(0) lgkmcnt(0)
	v_add_co_u32_e32 v4, vcc, v26, v16
	v_addc_co_u32_e32 v5, vcc, 0, v27, vcc
	v_add_co_u32_e32 v8, vcc, 2, v38
	v_addc_co_u32_e32 v9, vcc, 0, v39, vcc
	v_cmp_lt_u64_e32 vcc, v[4:5], v[8:9]
	s_and_saveexec_b64 s[78:79], vcc
	s_cbranch_execz .LBB2_944
; %bb.933:                              ;   in Loop: Header=BB2_931 Depth=3
	v_and_b32_e32 v4, 64, v47
	s_mov_b32 s50, 0
	v_cmp_eq_u32_e32 vcc, 0, v4
	s_mov_b64 s[88:89], 0
                                        ; implicit-def: $sgpr90_sgpr91
                                        ; implicit-def: $sgpr92_sgpr93
                                        ; implicit-def: $sgpr94_sgpr95
	s_branch .LBB2_937
.LBB2_934:                              ;   in Loop: Header=BB2_937 Depth=4
	s_waitcnt vmcnt(0) lgkmcnt(0)
	v_add_co_u32_e64 v4, s[26:27], v26, v16
	v_addc_co_u32_e64 v5, s[26:27], 0, v27, s[26:27]
	v_cmp_ge_u64_e64 s[26:27], v[4:5], v[8:9]
	s_or_b64 s[36:37], s[36:37], exec
	s_orn2_b64 s[34:35], s[26:27], exec
.LBB2_935:                              ;   in Loop: Header=BB2_937 Depth=4
	s_or_b64 exec, exec, s[48:49]
	s_andn2_b64 s[26:27], s[94:95], exec
	s_and_b64 s[94:95], s[36:37], exec
	s_or_b64 s[94:95], s[26:27], s[94:95]
	s_andn2_b64 s[26:27], s[92:93], exec
	s_and_b64 s[92:93], s[34:35], exec
	s_or_b64 s[92:93], s[26:27], s[92:93]
.LBB2_936:                              ;   in Loop: Header=BB2_937 Depth=4
	s_or_b64 exec, exec, s[30:31]
	s_and_b64 s[26:27], exec, s[92:93]
	s_or_b64 s[88:89], s[26:27], s[88:89]
	s_andn2_b64 s[26:27], s[90:91], exec
	s_and_b64 s[90:91], s[94:95], exec
	s_or_b64 s[90:91], s[26:27], s[90:91]
	s_andn2_b64 exec, exec, s[88:89]
	s_cbranch_execz .LBB2_941
.LBB2_937:                              ;   Parent Loop BB2_47 Depth=1
                                        ;     Parent Loop BB2_750 Depth=2
                                        ;       Parent Loop BB2_931 Depth=3
                                        ; =>      This Inner Loop Header: Depth=4
	s_sleep 1
	s_waitcnt vmcnt(0) lgkmcnt(0)
	flat_load_dwordx2 v[26:27], v[20:21] glc
	s_or_b64 s[94:95], s[94:95], exec
	s_or_b64 s[92:93], s[92:93], exec
                                        ; implicit-def: $vgpr10
	s_and_saveexec_b64 s[30:31], vcc
	s_cbranch_execz .LBB2_936
; %bb.938:                              ;   in Loop: Header=BB2_937 Depth=4
	s_cmpk_lt_i32 s50, 0x270f
	s_cselect_b64 s[38:39], -1, 0
	s_cmpk_gt_i32 s50, 0x270e
	s_mov_b64 s[34:35], -1
	s_cbranch_scc0 .LBB2_940
; %bb.939:                              ;   in Loop: Header=BB2_937 Depth=4
	s_trap 2
	ds_read_b64 v[4:5], v0
	s_andn2_b64 s[38:39], s[38:39], exec
	s_mov_b32 s50, 0
	s_mov_b64 s[36:37], 0
	s_waitcnt vmcnt(0) lgkmcnt(0)
	flat_load_dword v10, v[4:5] glc
	s_waitcnt vmcnt(0) lgkmcnt(0)
	buffer_wbinvl1_vol
	v_cmp_eq_u32_e64 s[26:27], 0, v10
	s_and_b64 s[26:27], s[26:27], exec
	s_or_b64 s[38:39], s[38:39], s[26:27]
	s_and_saveexec_b64 s[48:49], s[38:39]
	s_cbranch_execz .LBB2_935
	s_branch .LBB2_934
.LBB2_940:                              ;   in Loop: Header=BB2_937 Depth=4
	s_add_i32 s50, s50, 1
	s_mov_b64 s[36:37], -1
                                        ; implicit-def: $vgpr10
	s_and_saveexec_b64 s[48:49], s[38:39]
	s_cbranch_execz .LBB2_935
	s_branch .LBB2_934
.LBB2_941:                              ;   in Loop: Header=BB2_931 Depth=3
	s_or_b64 exec, exec, s[88:89]
	s_xor_b64 s[26:27], s[90:91], -1
	s_and_saveexec_b64 s[88:89], s[26:27]
	s_xor_b64 s[26:27], exec, s[88:89]
	s_cbranch_execz .LBB2_943
; %bb.942:                              ;   in Loop: Header=BB2_931 Depth=3
	v_or_b32_e32 v47, 64, v47
	s_waitcnt lgkmcnt(0)
	ds_write_b32 v0, v10
	s_trap 2
.LBB2_943:                              ;   in Loop: Header=BB2_931 Depth=3
	s_or_b64 exec, exec, s[26:27]
.LBB2_944:                              ;   in Loop: Header=BB2_931 Depth=3
	s_or_b64 exec, exec, s[78:79]
	v_and_b32_e32 v4, 0x108, v47
	v_cmp_ne_u32_e32 vcc, s55, v4
	;;#ASMSTART
	s_wakeup
	;;#ASMEND
                                        ; implicit-def: $vgpr10_vgpr11
	s_and_saveexec_b64 s[26:27], vcc
	s_xor_b64 s[26:27], exec, s[26:27]
; %bb.945:                              ;   in Loop: Header=BB2_931 Depth=3
	v_and_b32_e32 v10, 7, v38
	v_mov_b32_e32 v11, v2
                                        ; implicit-def: $vgpr38_vgpr39
; %bb.946:                              ;   in Loop: Header=BB2_931 Depth=3
	s_andn2_saveexec_b64 s[26:27], s[26:27]
	s_cbranch_execz .LBB2_948
; %bb.947:                              ;   in Loop: Header=BB2_931 Depth=3
	v_and_b32_e32 v10, 7, v38
	v_mad_u64_u32 v[4:5], s[78:79], v10, 24, v[34:35]
	v_mov_b32_e32 v11, v2
	v_ashrrev_i32_e32 v51, 31, v50
	flat_store_dwordx2 v[4:5], v[50:51] offset:8
.LBB2_948:                              ;   in Loop: Header=BB2_931 Depth=3
	s_or_b64 exec, exec, s[26:27]
	v_and_b32_e32 v4, 0x100, v47
	v_cmp_ne_u32_e32 vcc, 0, v4
	s_mov_b64 s[26:27], -1
                                        ; implicit-def: $vgpr38_vgpr39
	s_and_saveexec_b64 s[78:79], vcc
	s_cbranch_execz .LBB2_952
; %bb.949:                              ;   in Loop: Header=BB2_931 Depth=3
	v_mad_u64_u32 v[51:52], s[26:27], v10, 24, v[34:35]
                                        ; implicit-def: $vgpr38_vgpr39
	v_mov_b32_e32 v4, v52
	v_mad_u64_u32 v[4:5], s[26:27], v11, 24, v[4:5]
	v_mov_b32_e32 v52, v4
	flat_load_dword v4, v[51:52]
	s_waitcnt vmcnt(0) lgkmcnt(0)
	v_cmp_ne_u32_e32 vcc, 1, v4
	v_cmp_eq_u32_e64 s[26:27], 1, v4
	s_and_saveexec_b64 s[88:89], s[26:27]
	s_cbranch_execz .LBB2_951
; %bb.950:                              ;   in Loop: Header=BB2_931 Depth=3
	flat_load_dword v38, v[51:52] offset:4 glc
	s_waitcnt vmcnt(0) lgkmcnt(0)
	v_ashrrev_i32_e32 v39, 31, v38
.LBB2_951:                              ;   in Loop: Header=BB2_931 Depth=3
	s_or_b64 exec, exec, s[88:89]
	s_orn2_b64 s[26:27], vcc, exec
.LBB2_952:                              ;   in Loop: Header=BB2_931 Depth=3
	s_or_b64 exec, exec, s[78:79]
	s_and_saveexec_b64 s[78:79], s[26:27]
	s_cbranch_execz .LBB2_954
; %bb.953:                              ;   in Loop: Header=BB2_931 Depth=3
	v_mul_lo_u32 v4, v11, v56
	v_mul_lo_u32 v5, v10, v59
	v_mad_u64_u32 v[38:39], s[26:27], v10, v56, 0
	v_add3_u32 v39, v39, v5, v4
.LBB2_954:                              ;   in Loop: Header=BB2_931 Depth=3
	s_or_b64 exec, exec, s[78:79]
	v_cmp_eq_u32_e32 vcc, 0, v16
	v_mov_b32_e32 v4, 0x88
	v_cndmask_b32_e32 v6, v42, v4, vcc
	v_add_co_u32_e32 v4, vcc, v22, v38
	v_addc_co_u32_e32 v5, vcc, v23, v39, vcc
	v_add_u32_e32 v6, v0, v6
	ds_write_b64 v6, v[4:5] offset:584
	v_and_b32_e32 v4, 0x2000, v47
	v_cmp_ne_u32_e32 vcc, 0, v4
	s_and_saveexec_b64 s[26:27], vcc
	s_cbranch_execz .LBB2_956
; %bb.955:                              ;   in Loop: Header=BB2_931 Depth=3
	ds_read_b64 v[4:5], v0 offset:872
	s_waitcnt lgkmcnt(0)
	v_add_co_u32_e32 v4, vcc, 1, v4
	v_addc_co_u32_e32 v5, vcc, 0, v5, vcc
	ds_write_b64 v0, v[4:5] offset:872
.LBB2_956:                              ;   in Loop: Header=BB2_931 Depth=3
	s_or_b64 exec, exec, s[26:27]
	v_mov_b32_e32 v39, v9
	v_mov_b32_e32 v38, v8
.LBB2_957:                              ;   in Loop: Header=BB2_931 Depth=3
	s_or_b64 exec, exec, s[76:77]
	s_xor_b64 s[26:27], s[42:43], -1
	s_and_b64 s[26:27], exec, s[26:27]
	s_or_b64 s[40:41], s[26:27], s[40:41]
	s_and_saveexec_b64 s[26:27], s[10:11]
	s_cbranch_execz .LBB2_976
; %bb.958:                              ;   in Loop: Header=BB2_931 Depth=3
	s_and_saveexec_b64 s[42:43], s[56:57]
	s_xor_b64 s[42:43], exec, s[42:43]
	s_cbranch_execz .LBB2_973
; %bb.959:                              ;   in Loop: Header=BB2_931 Depth=3
	s_and_saveexec_b64 s[76:77], s[16:17]
	s_cbranch_execz .LBB2_972
; %bb.960:                              ;   in Loop: Header=BB2_931 Depth=3
	s_mov_b64 s[88:89], exec
	v_mbcnt_lo_u32_b32 v4, s88, 0
	v_mbcnt_hi_u32_b32 v4, s89, v4
	v_cmp_eq_u32_e32 vcc, 0, v4
	s_waitcnt vmcnt(0) lgkmcnt(0)
	buffer_wbinvl1_vol
	s_and_saveexec_b64 s[78:79], vcc
	s_cbranch_execz .LBB2_962
; %bb.961:                              ;   in Loop: Header=BB2_931 Depth=3
	s_bcnt1_i32_b64 s88, s[88:89]
	v_mov_b32_e32 v4, s88
	v_mov_b32_e32 v5, v2
	ds_add_u64 v0, v[4:5]
	s_trap 2
.LBB2_962:                              ;   in Loop: Header=BB2_931 Depth=3
	s_or_b64 exec, exec, s[78:79]
	s_trap 2
	ds_read_b64 v[4:5], v0
	s_waitcnt lgkmcnt(0)
	v_add_co_u32_e32 v12, vcc, v12, v57
	v_addc_co_u32_e32 v13, vcc, 0, v13, vcc
	v_cmp_lt_u64_e32 vcc, v[4:5], v[12:13]
	s_and_saveexec_b64 s[78:79], vcc
	s_cbranch_execz .LBB2_971
; %bb.963:                              ;   in Loop: Header=BB2_931 Depth=3
	s_mov_b32 s34, 0
	s_mov_b64 s[88:89], 0
                                        ; implicit-def: $sgpr90_sgpr91
                                        ; implicit-def: $sgpr92_sgpr93
	s_branch .LBB2_965
.LBB2_964:                              ;   in Loop: Header=BB2_965 Depth=4
	s_or_b64 exec, exec, s[30:31]
	s_and_b64 s[94:95], exec, vcc
	s_or_b64 s[88:89], s[94:95], s[88:89]
	s_andn2_b64 s[90:91], s[90:91], exec
	s_and_b64 s[94:95], s[92:93], exec
	s_or_b64 s[90:91], s[90:91], s[94:95]
	s_andn2_b64 exec, exec, s[88:89]
	s_cbranch_execz .LBB2_969
.LBB2_965:                              ;   Parent Loop BB2_47 Depth=1
                                        ;     Parent Loop BB2_750 Depth=2
                                        ;       Parent Loop BB2_931 Depth=3
                                        ; =>      This Inner Loop Header: Depth=4
	s_add_i32 s34, s34, 1
	s_cmpk_lg_i32 s34, 0x2710
	s_cselect_b64 s[94:95], -1, 0
	s_and_b64 vcc, exec, s[94:95]
	s_cbranch_vccz .LBB2_967
; %bb.966:                              ;   in Loop: Header=BB2_965 Depth=4
	s_mov_b64 vcc, -1
	s_or_b64 s[92:93], s[92:93], exec
	s_and_saveexec_b64 s[30:31], s[94:95]
	s_cbranch_execz .LBB2_964
	s_branch .LBB2_968
.LBB2_967:                              ;   in Loop: Header=BB2_965 Depth=4
	s_trap 2
	ds_read_b64 v[4:5], v0
	s_andn2_b64 s[94:95], s[94:95], exec
	s_mov_b32 s34, 0
	s_waitcnt lgkmcnt(0)
	flat_load_dword v4, v[4:5] glc
	s_waitcnt vmcnt(0) lgkmcnt(0)
	buffer_wbinvl1_vol
	v_cmp_eq_u32_e32 vcc, 0, v4
	s_and_b64 vcc, vcc, exec
	s_or_b64 s[94:95], s[94:95], vcc
	s_mov_b64 vcc, -1
	s_or_b64 s[92:93], s[92:93], exec
	s_and_saveexec_b64 s[30:31], s[94:95]
	s_cbranch_execz .LBB2_964
.LBB2_968:                              ;   in Loop: Header=BB2_965 Depth=4
	s_sleep 1
	s_trap 2
	ds_read_b64 v[4:5], v0
	s_waitcnt lgkmcnt(0)
	s_andn2_b64 s[92:93], s[92:93], exec
	v_cmp_ge_u64_e32 vcc, v[4:5], v[12:13]
	s_orn2_b64 vcc, vcc, exec
	s_branch .LBB2_964
.LBB2_969:                              ;   in Loop: Header=BB2_931 Depth=3
	s_or_b64 exec, exec, s[88:89]
	s_and_saveexec_b64 s[88:89], s[90:91]
	s_xor_b64 s[88:89], exec, s[88:89]
	s_cbranch_execz .LBB2_971
; %bb.970:                              ;   in Loop: Header=BB2_931 Depth=3
	ds_write_b32 v0, v62
	s_trap 2
.LBB2_971:                              ;   in Loop: Header=BB2_931 Depth=3
	s_or_b64 exec, exec, s[78:79]
	;;#ASMSTART
	s_wakeup
	;;#ASMEND
.LBB2_972:                              ;   in Loop: Header=BB2_931 Depth=3
	s_or_b64 exec, exec, s[76:77]
.LBB2_973:                              ;   in Loop: Header=BB2_931 Depth=3
	s_andn2_saveexec_b64 s[42:43], s[42:43]
	s_cbranch_execz .LBB2_975
; %bb.974:                              ;   in Loop: Header=BB2_931 Depth=3
	s_waitcnt vmcnt(0) lgkmcnt(0)
	buffer_wbinvl1_vol
	s_barrier
.LBB2_975:                              ;   in Loop: Header=BB2_931 Depth=3
	s_or_b64 exec, exec, s[42:43]
.LBB2_976:                              ;   in Loop: Header=BB2_931 Depth=3
	s_or_b64 exec, exec, s[26:27]
	v_and_b32_e32 v8, 16, v47
	s_and_saveexec_b64 s[26:27], s[24:25]
	s_xor_b64 s[26:27], exec, s[26:27]
	s_cbranch_execz .LBB2_980
; %bb.977:                              ;   in Loop: Header=BB2_931 Depth=3
	s_trap 2
	ds_read_b32 v4, v0
	v_cmp_lt_i32_e32 vcc, 0, v50
	v_and_b32_e32 v8, 16, v47
	s_waitcnt lgkmcnt(0)
	v_readfirstlane_b32 s42, v4
	s_cmp_eq_u32 s42, 0
	s_cselect_b64 s[42:43], -1, 0
	v_and_b32_e32 v4, 16, v47
	s_and_b64 s[42:43], vcc, s[42:43]
	v_cmp_ne_u32_e32 vcc, 0, v4
	s_and_b64 s[76:77], vcc, s[42:43]
	s_and_saveexec_b64 s[42:43], s[76:77]
	s_cbranch_execz .LBB2_979
; %bb.978:                              ;   in Loop: Header=BB2_931 Depth=3
	v_mov_b32_e32 v8, 1
	s_waitcnt vmcnt(0)
	buffer_wbinvl1_vol
.LBB2_979:                              ;   in Loop: Header=BB2_931 Depth=3
	s_or_b64 exec, exec, s[42:43]
.LBB2_980:                              ;   in Loop: Header=BB2_931 Depth=3
	s_andn2_saveexec_b64 s[26:27], s[26:27]
	s_cbranch_execz .LBB2_999
; %bb.981:                              ;   in Loop: Header=BB2_931 Depth=3
	s_and_saveexec_b64 s[42:43], s[56:57]
	s_xor_b64 s[42:43], exec, s[42:43]
	s_cbranch_execz .LBB2_996
; %bb.982:                              ;   in Loop: Header=BB2_931 Depth=3
	s_and_saveexec_b64 s[76:77], s[16:17]
	s_cbranch_execz .LBB2_995
; %bb.983:                              ;   in Loop: Header=BB2_931 Depth=3
	s_mov_b64 s[88:89], exec
	v_mbcnt_lo_u32_b32 v4, s88, 0
	v_mbcnt_hi_u32_b32 v4, s89, v4
	v_cmp_eq_u32_e32 vcc, 0, v4
	;;#ASMSTART
	s_waitcnt lgkmcnt(0) vmcnt(0)
	;;#ASMEND
	s_and_saveexec_b64 s[78:79], vcc
	s_cbranch_execz .LBB2_985
; %bb.984:                              ;   in Loop: Header=BB2_931 Depth=3
	s_bcnt1_i32_b64 s88, s[88:89]
	v_mov_b32_e32 v4, s88
	v_mov_b32_e32 v5, v2
	s_waitcnt lgkmcnt(0)
	ds_add_u64 v0, v[4:5]
	s_trap 2
.LBB2_985:                              ;   in Loop: Header=BB2_931 Depth=3
	s_or_b64 exec, exec, s[78:79]
	s_trap 2
	ds_read_b64 v[4:5], v0
	s_waitcnt lgkmcnt(0)
	v_add_co_u32_e32 v12, vcc, v12, v57
	v_addc_co_u32_e32 v13, vcc, 0, v13, vcc
	v_cmp_lt_u64_e32 vcc, v[4:5], v[12:13]
	s_and_saveexec_b64 s[78:79], vcc
	s_cbranch_execz .LBB2_994
; %bb.986:                              ;   in Loop: Header=BB2_931 Depth=3
	s_mov_b32 s34, 0
	s_mov_b64 s[88:89], 0
                                        ; implicit-def: $sgpr90_sgpr91
                                        ; implicit-def: $sgpr92_sgpr93
	s_branch .LBB2_988
.LBB2_987:                              ;   in Loop: Header=BB2_988 Depth=4
	s_or_b64 exec, exec, s[30:31]
	s_and_b64 s[94:95], exec, vcc
	s_or_b64 s[88:89], s[94:95], s[88:89]
	s_andn2_b64 s[90:91], s[90:91], exec
	s_and_b64 s[94:95], s[92:93], exec
	s_or_b64 s[90:91], s[90:91], s[94:95]
	s_andn2_b64 exec, exec, s[88:89]
	s_cbranch_execz .LBB2_992
.LBB2_988:                              ;   Parent Loop BB2_47 Depth=1
                                        ;     Parent Loop BB2_750 Depth=2
                                        ;       Parent Loop BB2_931 Depth=3
                                        ; =>      This Inner Loop Header: Depth=4
	s_add_i32 s34, s34, 1
	s_cmpk_lg_i32 s34, 0x2710
	s_cselect_b64 s[94:95], -1, 0
	s_and_b64 vcc, exec, s[94:95]
	s_cbranch_vccz .LBB2_990
; %bb.989:                              ;   in Loop: Header=BB2_988 Depth=4
	s_mov_b64 vcc, -1
	s_or_b64 s[92:93], s[92:93], exec
	s_and_saveexec_b64 s[30:31], s[94:95]
	s_cbranch_execz .LBB2_987
	s_branch .LBB2_991
.LBB2_990:                              ;   in Loop: Header=BB2_988 Depth=4
	s_trap 2
	ds_read_b64 v[4:5], v0
	s_andn2_b64 s[94:95], s[94:95], exec
	s_mov_b32 s34, 0
	s_waitcnt vmcnt(0) lgkmcnt(0)
	flat_load_dword v4, v[4:5] glc
	s_waitcnt vmcnt(0) lgkmcnt(0)
	buffer_wbinvl1_vol
	v_cmp_eq_u32_e32 vcc, 0, v4
	s_and_b64 vcc, vcc, exec
	s_or_b64 s[94:95], s[94:95], vcc
	s_mov_b64 vcc, -1
	s_or_b64 s[92:93], s[92:93], exec
	s_and_saveexec_b64 s[30:31], s[94:95]
	s_cbranch_execz .LBB2_987
.LBB2_991:                              ;   in Loop: Header=BB2_988 Depth=4
	s_sleep 1
	s_trap 2
	ds_read_b64 v[4:5], v0
	s_waitcnt lgkmcnt(0)
	s_andn2_b64 s[92:93], s[92:93], exec
	v_cmp_ge_u64_e32 vcc, v[4:5], v[12:13]
	s_orn2_b64 vcc, vcc, exec
	s_branch .LBB2_987
.LBB2_992:                              ;   in Loop: Header=BB2_931 Depth=3
	s_or_b64 exec, exec, s[88:89]
	s_and_saveexec_b64 s[88:89], s[90:91]
	s_xor_b64 s[88:89], exec, s[88:89]
	s_cbranch_execz .LBB2_994
; %bb.993:                              ;   in Loop: Header=BB2_931 Depth=3
	ds_write_b32 v0, v62
	s_trap 2
.LBB2_994:                              ;   in Loop: Header=BB2_931 Depth=3
	s_or_b64 exec, exec, s[78:79]
	;;#ASMSTART
	s_wakeup
	;;#ASMEND
.LBB2_995:                              ;   in Loop: Header=BB2_931 Depth=3
	s_or_b64 exec, exec, s[76:77]
.LBB2_996:                              ;   in Loop: Header=BB2_931 Depth=3
	s_andn2_saveexec_b64 s[42:43], s[42:43]
	s_cbranch_execz .LBB2_998
; %bb.997:                              ;   in Loop: Header=BB2_931 Depth=3
	;;#ASMSTART
	s_waitcnt lgkmcnt(0) vmcnt(0)
	;;#ASMEND
	s_waitcnt vmcnt(0) lgkmcnt(0)
	s_barrier
.LBB2_998:                              ;   in Loop: Header=BB2_931 Depth=3
	s_or_b64 exec, exec, s[42:43]
.LBB2_999:                              ;   in Loop: Header=BB2_931 Depth=3
	s_or_b64 exec, exec, s[26:27]
	v_cmp_ne_u32_e32 vcc, 0, v8
	s_xor_b64 s[26:27], s[12:13], -1
	s_and_b64 s[42:43], vcc, s[26:27]
	s_and_saveexec_b64 s[26:27], s[42:43]
	s_cbranch_execz .LBB2_1001
; %bb.1000:                             ;   in Loop: Header=BB2_931 Depth=3
	flat_store_dword v[24:25], v62
.LBB2_1001:                             ;   in Loop: Header=BB2_931 Depth=3
	s_or_b64 exec, exec, s[26:27]
	v_and_b32_e32 v4, 48, v47
	v_cmp_ne_u32_e32 vcc, 0, v4
	s_and_saveexec_b64 s[26:27], vcc
	s_cbranch_execz .LBB2_930
; %bb.1002:                             ;   in Loop: Header=BB2_931 Depth=3
	v_add_co_u32_e32 v38, vcc, 2, v38
	v_addc_co_u32_e32 v39, vcc, 0, v39, vcc
	flat_store_dwordx2 v[20:21], v[38:39]
	s_branch .LBB2_930
.LBB2_1003:                             ;   in Loop: Header=BB2_750 Depth=2
	s_or_b64 exec, exec, s[76:77]
	s_or_b64 exec, exec, s[42:43]
	v_cmp_gt_i32_e32 vcc, 2, v10
	s_and_saveexec_b64 s[28:29], vcc
	s_cbranch_execnz .LBB2_929
.LBB2_1004:                             ;   in Loop: Header=BB2_750 Depth=2
	s_or_b64 exec, exec, s[28:29]
	s_add_i32 s26, s75, 1
	s_cmp_eq_u32 s75, s86
	s_cbranch_scc0 .LBB2_1006
	s_branch .LBB2_1007
.LBB2_1005:                             ;   in Loop: Header=BB2_750 Depth=2
	s_or_b64 exec, exec, s[40:41]
	s_or_b64 exec, exec, s[28:29]
	s_add_i32 s26, s75, 1
	s_cmp_eq_u32 s75, s86
	s_cbranch_scc1 .LBB2_1007
.LBB2_1006:                             ;   in Loop: Header=BB2_750 Depth=2
	s_mov_b32 s75, s26
	s_branch .LBB2_750
.LBB2_1007:                             ;   in Loop: Header=BB2_47 Depth=1
	buffer_load_dword v5, off, s[0:3], s33 offset:108 ; 4-byte Folded Reload
	buffer_load_dword v6, off, s[0:3], s33 offset:112 ; 4-byte Folded Reload
	v_mov_b32_e32 v10, 0
	v_mov_b32_e32 v50, 0
	s_waitcnt vmcnt(0)
	v_mul_lo_u32 v3, v5, s96
	v_mul_lo_u32 v1, v6, s87
	v_mad_u64_u32 v[8:9], s[26:27], v5, s87, 0
	v_add3_u32 v9, v9, v3, v1
	buffer_load_dword v3, off, s[0:3], s33 offset:100 ; 4-byte Folded Reload
	buffer_load_dword v4, off, s[0:3], s33 offset:104 ; 4-byte Folded Reload
	s_waitcnt vmcnt(0)
	v_sub_co_u32_e32 v3, vcc, v3, v8
	v_subb_co_u32_e32 v4, vcc, v4, v9, vcc
	v_cmp_lt_i64_e32 vcc, v[5:6], v[3:4]
	v_cndmask_b32_e32 v4, v3, v5, vcc
	v_max_i32_e32 v1, 0, v4
	v_add_u32_e32 v3, 31, v1
	v_lshrrev_b32_e32 v3, 1, v3
	v_and_b32_e32 v3, 0x3ffffff0, v3
	v_cmp_lt_i32_e32 vcc, 0, v4
	v_max_i32_e32 v3, s85, v3
	s_and_b64 s[26:27], s[72:73], vcc
	s_and_saveexec_b64 s[28:29], s[26:27]
	s_cbranch_execz .LBB2_1145
; %bb.1008:                             ;   in Loop: Header=BB2_47 Depth=1
	buffer_load_dword v4, off, s[0:3], s33 offset:68 ; 4-byte Folded Reload
	s_mov_b32 s75, 1
	s_mov_b64 s[42:43], -1
	v_mov_b32_e32 v50, 0
	s_mov_b64 s[40:41], 0
	s_waitcnt vmcnt(0)
	v_add_co_u32_e32 v51, vcc, v8, v4
	buffer_load_dword v4, off, s[0:3], s33 offset:72 ; 4-byte Folded Reload
	s_waitcnt vmcnt(0)
	v_addc_co_u32_e32 v31, vcc, v9, v4, vcc
	s_branch .LBB2_1010
.LBB2_1009:                             ;   in Loop: Header=BB2_1010 Depth=2
	s_or_b64 exec, exec, s[26:27]
	v_add_u32_e32 v50, v3, v50
	v_cmp_ge_i32_e32 vcc, v50, v1
	s_xor_b64 s[26:27], s[42:43], -1
	s_or_b64 s[26:27], s[26:27], vcc
	s_and_b64 s[26:27], exec, s[26:27]
	s_or_b64 s[40:41], s[26:27], s[40:41]
	s_mov_b64 s[42:43], 0
	v_mov_b32_e32 v10, s75
	s_mov_b32 s75, 2
	s_andn2_b64 exec, exec, s[40:41]
	s_cbranch_execz .LBB2_1144
.LBB2_1010:                             ;   Parent Loop BB2_47 Depth=1
                                        ; =>  This Loop Header: Depth=2
                                        ;       Child Loop BB2_1018 Depth 3
                                        ;       Child Loop BB2_1042 Depth 3
	;; [unrolled: 1-line block ×9, first 2 shown]
	s_and_saveexec_b64 s[26:27], s[4:5]
	s_cbranch_execz .LBB2_1012
; %bb.1011:                             ;   in Loop: Header=BB2_1010 Depth=2
	s_trap 2
	ds_read_b128 v[4:7], v0
	v_ashrrev_i32_e32 v8, 31, v50
	s_waitcnt lgkmcnt(0)
	v_add_co_u32_e32 v4, vcc, v4, v51
	v_addc_co_u32_e32 v5, vcc, v5, v31, vcc
	v_add_co_u32_e32 v4, vcc, v4, v50
	v_addc_co_u32_e32 v5, vcc, v5, v8, vcc
	ds_write_b64 v0, v[4:5]
	v_add_co_u32_e32 v4, vcc, v6, v51
	v_addc_co_u32_e32 v5, vcc, v7, v31, vcc
	v_add_co_u32_e32 v4, vcc, v4, v50
	v_addc_co_u32_e32 v5, vcc, v5, v8, vcc
	v_cmp_ne_u64_e32 vcc, 0, v[6:7]
	v_cndmask_b32_e32 v5, 0, v5, vcc
	v_cndmask_b32_e32 v4, 0, v4, vcc
	ds_write_b64 v0, v[4:5]
.LBB2_1012:                             ;   in Loop: Header=BB2_1010 Depth=2
	s_or_b64 exec, exec, s[26:27]
	v_and_b32_e32 v4, 4, v47
	v_cmp_ne_u32_e32 vcc, 0, v4
	s_and_saveexec_b64 s[76:77], vcc
	s_cbranch_execz .LBB2_1034
; %bb.1013:                             ;   in Loop: Header=BB2_1010 Depth=2
	v_add_co_u32_e32 v8, vcc, 2, v38
	v_addc_co_u32_e32 v9, vcc, 0, v39, vcc
	s_waitcnt vmcnt(0) lgkmcnt(0)
	v_cmp_lt_u64_e32 vcc, v[26:27], v[8:9]
	s_and_saveexec_b64 s[78:79], vcc
	s_cbranch_execz .LBB2_1025
; %bb.1014:                             ;   in Loop: Header=BB2_1010 Depth=2
	v_and_b32_e32 v4, 64, v47
	s_mov_b32 s50, 0
	v_cmp_eq_u32_e32 vcc, 0, v4
	s_mov_b64 s[88:89], 0
                                        ; implicit-def: $sgpr90_sgpr91
                                        ; implicit-def: $sgpr92_sgpr93
                                        ; implicit-def: $sgpr94_sgpr95
	s_branch .LBB2_1018
.LBB2_1015:                             ;   in Loop: Header=BB2_1018 Depth=3
	s_waitcnt vmcnt(0) lgkmcnt(0)
	v_cmp_ge_u64_e64 s[26:27], v[26:27], v[8:9]
	s_or_b64 s[36:37], s[36:37], exec
	s_orn2_b64 s[34:35], s[26:27], exec
.LBB2_1016:                             ;   in Loop: Header=BB2_1018 Depth=3
	s_or_b64 exec, exec, s[48:49]
	s_andn2_b64 s[26:27], s[94:95], exec
	s_and_b64 s[94:95], s[36:37], exec
	s_or_b64 s[94:95], s[26:27], s[94:95]
	s_andn2_b64 s[26:27], s[92:93], exec
	s_and_b64 s[92:93], s[34:35], exec
	s_or_b64 s[92:93], s[26:27], s[92:93]
.LBB2_1017:                             ;   in Loop: Header=BB2_1018 Depth=3
	s_or_b64 exec, exec, s[30:31]
	s_and_b64 s[26:27], exec, s[92:93]
	s_or_b64 s[88:89], s[26:27], s[88:89]
	s_andn2_b64 s[26:27], s[90:91], exec
	s_and_b64 s[90:91], s[94:95], exec
	s_or_b64 s[90:91], s[26:27], s[90:91]
	s_andn2_b64 exec, exec, s[88:89]
	s_cbranch_execz .LBB2_1022
.LBB2_1018:                             ;   Parent Loop BB2_47 Depth=1
                                        ;     Parent Loop BB2_1010 Depth=2
                                        ; =>    This Inner Loop Header: Depth=3
	s_sleep 1
	s_waitcnt vmcnt(0) lgkmcnt(0)
	flat_load_dwordx2 v[26:27], v[20:21] glc
	s_or_b64 s[94:95], s[94:95], exec
	s_or_b64 s[92:93], s[92:93], exec
                                        ; implicit-def: $vgpr10
	s_and_saveexec_b64 s[30:31], vcc
	s_cbranch_execz .LBB2_1017
; %bb.1019:                             ;   in Loop: Header=BB2_1018 Depth=3
	s_cmpk_lt_i32 s50, 0x270f
	s_cselect_b64 s[38:39], -1, 0
	s_cmpk_gt_i32 s50, 0x270e
	s_mov_b64 s[34:35], -1
	s_cbranch_scc0 .LBB2_1021
; %bb.1020:                             ;   in Loop: Header=BB2_1018 Depth=3
	s_trap 2
	ds_read_b64 v[4:5], v0
	s_andn2_b64 s[38:39], s[38:39], exec
	s_mov_b32 s50, 0
	s_mov_b64 s[36:37], 0
	s_waitcnt vmcnt(0) lgkmcnt(0)
	flat_load_dword v10, v[4:5] glc
	s_waitcnt vmcnt(0) lgkmcnt(0)
	buffer_wbinvl1_vol
	v_cmp_eq_u32_e64 s[26:27], 0, v10
	s_and_b64 s[26:27], s[26:27], exec
	s_or_b64 s[38:39], s[38:39], s[26:27]
	s_and_saveexec_b64 s[48:49], s[38:39]
	s_cbranch_execz .LBB2_1016
	s_branch .LBB2_1015
.LBB2_1021:                             ;   in Loop: Header=BB2_1018 Depth=3
	s_add_i32 s50, s50, 1
	s_mov_b64 s[36:37], -1
                                        ; implicit-def: $vgpr10
	s_and_saveexec_b64 s[48:49], s[38:39]
	s_cbranch_execz .LBB2_1016
	s_branch .LBB2_1015
.LBB2_1022:                             ;   in Loop: Header=BB2_1010 Depth=2
	s_or_b64 exec, exec, s[88:89]
	s_xor_b64 s[26:27], s[90:91], -1
	s_and_saveexec_b64 s[88:89], s[26:27]
	s_xor_b64 s[26:27], exec, s[88:89]
	s_cbranch_execz .LBB2_1024
; %bb.1023:                             ;   in Loop: Header=BB2_1010 Depth=2
	v_or_b32_e32 v47, 64, v47
	s_waitcnt lgkmcnt(0)
	ds_write_b32 v0, v10
	s_trap 2
.LBB2_1024:                             ;   in Loop: Header=BB2_1010 Depth=2
	s_or_b64 exec, exec, s[26:27]
.LBB2_1025:                             ;   in Loop: Header=BB2_1010 Depth=2
	s_or_b64 exec, exec, s[78:79]
	v_and_b32_e32 v4, 0x100, v47
	v_cmp_ne_u32_e32 vcc, 0, v4
	v_and_b32_e32 v16, 7, v38
	s_mov_b64 s[26:27], -1
	;;#ASMSTART
	s_wakeup
	;;#ASMEND
                                        ; implicit-def: $vgpr10_vgpr11
	s_and_saveexec_b64 s[78:79], vcc
	s_cbranch_execz .LBB2_1029
; %bb.1026:                             ;   in Loop: Header=BB2_1010 Depth=2
	v_mad_u64_u32 v[38:39], s[26:27], v16, 24, v[34:35]
                                        ; implicit-def: $vgpr10_vgpr11
	flat_load_dword v4, v[38:39]
	s_waitcnt vmcnt(0) lgkmcnt(0)
	v_cmp_ne_u32_e32 vcc, 1, v4
	v_cmp_eq_u32_e64 s[26:27], 1, v4
	s_and_saveexec_b64 s[88:89], s[26:27]
	s_cbranch_execz .LBB2_1028
; %bb.1027:                             ;   in Loop: Header=BB2_1010 Depth=2
	flat_load_dword v10, v[38:39] offset:4 glc
	s_waitcnt vmcnt(0) lgkmcnt(0)
	v_ashrrev_i32_e32 v11, 31, v10
.LBB2_1028:                             ;   in Loop: Header=BB2_1010 Depth=2
	s_or_b64 exec, exec, s[88:89]
	s_orn2_b64 s[26:27], vcc, exec
.LBB2_1029:                             ;   in Loop: Header=BB2_1010 Depth=2
	s_or_b64 exec, exec, s[78:79]
	s_and_saveexec_b64 s[78:79], s[26:27]
; %bb.1030:                             ;   in Loop: Header=BB2_1010 Depth=2
	v_mad_i64_i32 v[10:11], s[26:27], v16, v56, 0
; %bb.1031:                             ;   in Loop: Header=BB2_1010 Depth=2
	s_or_b64 exec, exec, s[78:79]
	v_add_co_u32_e32 v4, vcc, v22, v10
	v_addc_co_u32_e32 v5, vcc, v23, v11, vcc
	ds_write_b64 v0, v[4:5] offset:720
	v_and_b32_e32 v4, 0x2000, v47
	v_cmp_ne_u32_e32 vcc, 0, v4
	s_and_saveexec_b64 s[26:27], vcc
	s_cbranch_execz .LBB2_1033
; %bb.1032:                             ;   in Loop: Header=BB2_1010 Depth=2
	ds_read_b64 v[4:5], v0 offset:872
	s_waitcnt lgkmcnt(0)
	v_add_co_u32_e32 v4, vcc, 1, v4
	v_addc_co_u32_e32 v5, vcc, 0, v5, vcc
	ds_write_b64 v0, v[4:5] offset:872
.LBB2_1033:                             ;   in Loop: Header=BB2_1010 Depth=2
	s_or_b64 exec, exec, s[26:27]
	v_mov_b32_e32 v39, v9
	v_mov_b32_e32 v38, v8
.LBB2_1034:                             ;   in Loop: Header=BB2_1010 Depth=2
	s_or_b64 exec, exec, s[76:77]
	s_and_saveexec_b64 s[26:27], s[10:11]
	s_cbranch_execz .LBB2_1053
; %bb.1035:                             ;   in Loop: Header=BB2_1010 Depth=2
	s_and_saveexec_b64 s[76:77], s[56:57]
	s_xor_b64 s[76:77], exec, s[76:77]
	s_cbranch_execz .LBB2_1050
; %bb.1036:                             ;   in Loop: Header=BB2_1010 Depth=2
	s_and_saveexec_b64 s[78:79], s[16:17]
	s_cbranch_execz .LBB2_1049
; %bb.1037:                             ;   in Loop: Header=BB2_1010 Depth=2
	s_mov_b64 s[90:91], exec
	v_mbcnt_lo_u32_b32 v4, s90, 0
	v_mbcnt_hi_u32_b32 v4, s91, v4
	v_cmp_eq_u32_e32 vcc, 0, v4
	s_waitcnt vmcnt(0) lgkmcnt(0)
	buffer_wbinvl1_vol
	s_and_saveexec_b64 s[88:89], vcc
	s_cbranch_execz .LBB2_1039
; %bb.1038:                             ;   in Loop: Header=BB2_1010 Depth=2
	s_bcnt1_i32_b64 s90, s[90:91]
	v_mov_b32_e32 v4, s90
	v_mov_b32_e32 v5, v2
	ds_add_u64 v0, v[4:5]
	s_trap 2
.LBB2_1039:                             ;   in Loop: Header=BB2_1010 Depth=2
	s_or_b64 exec, exec, s[88:89]
	s_trap 2
	ds_read_b64 v[4:5], v0
	s_waitcnt lgkmcnt(0)
	v_add_co_u32_e32 v12, vcc, v12, v57
	v_addc_co_u32_e32 v13, vcc, 0, v13, vcc
	v_cmp_lt_u64_e32 vcc, v[4:5], v[12:13]
	s_and_saveexec_b64 s[88:89], vcc
	s_cbranch_execz .LBB2_1048
; %bb.1040:                             ;   in Loop: Header=BB2_1010 Depth=2
	s_mov_b32 s36, 0
	s_mov_b64 s[90:91], 0
                                        ; implicit-def: $sgpr92_sgpr93
                                        ; implicit-def: $sgpr94_sgpr95
	s_branch .LBB2_1042
.LBB2_1041:                             ;   in Loop: Header=BB2_1042 Depth=3
	s_or_b64 exec, exec, s[34:35]
	s_and_b64 vcc, exec, vcc
	s_or_b64 s[90:91], vcc, s[90:91]
	s_andn2_b64 s[92:93], s[92:93], exec
	s_and_b64 vcc, s[94:95], exec
	s_or_b64 s[92:93], s[92:93], vcc
	s_andn2_b64 exec, exec, s[90:91]
	s_cbranch_execz .LBB2_1046
.LBB2_1042:                             ;   Parent Loop BB2_47 Depth=1
                                        ;     Parent Loop BB2_1010 Depth=2
                                        ; =>    This Inner Loop Header: Depth=3
	s_add_i32 s36, s36, 1
	s_cmpk_lg_i32 s36, 0x2710
	s_cselect_b64 s[30:31], -1, 0
	s_and_b64 vcc, exec, s[30:31]
	s_cbranch_vccz .LBB2_1044
; %bb.1043:                             ;   in Loop: Header=BB2_1042 Depth=3
	s_mov_b64 vcc, -1
	s_or_b64 s[94:95], s[94:95], exec
	s_and_saveexec_b64 s[34:35], s[30:31]
	s_cbranch_execz .LBB2_1041
	s_branch .LBB2_1045
.LBB2_1044:                             ;   in Loop: Header=BB2_1042 Depth=3
	s_trap 2
	ds_read_b64 v[4:5], v0
	s_andn2_b64 s[30:31], s[30:31], exec
	s_mov_b32 s36, 0
	s_waitcnt lgkmcnt(0)
	flat_load_dword v4, v[4:5] glc
	s_waitcnt vmcnt(0) lgkmcnt(0)
	buffer_wbinvl1_vol
	v_cmp_eq_u32_e32 vcc, 0, v4
	s_and_b64 vcc, vcc, exec
	s_or_b64 s[30:31], s[30:31], vcc
	s_mov_b64 vcc, -1
	s_or_b64 s[94:95], s[94:95], exec
	s_and_saveexec_b64 s[34:35], s[30:31]
	s_cbranch_execz .LBB2_1041
.LBB2_1045:                             ;   in Loop: Header=BB2_1042 Depth=3
	s_sleep 1
	s_trap 2
	ds_read_b64 v[4:5], v0
	s_waitcnt lgkmcnt(0)
	s_andn2_b64 s[94:95], s[94:95], exec
	v_cmp_ge_u64_e32 vcc, v[4:5], v[12:13]
	s_orn2_b64 vcc, vcc, exec
	s_branch .LBB2_1041
.LBB2_1046:                             ;   in Loop: Header=BB2_1010 Depth=2
	s_or_b64 exec, exec, s[90:91]
	s_and_saveexec_b64 s[90:91], s[92:93]
	s_xor_b64 s[90:91], exec, s[90:91]
	s_cbranch_execz .LBB2_1048
; %bb.1047:                             ;   in Loop: Header=BB2_1010 Depth=2
	ds_write_b32 v0, v62
	s_trap 2
.LBB2_1048:                             ;   in Loop: Header=BB2_1010 Depth=2
	s_or_b64 exec, exec, s[88:89]
	;;#ASMSTART
	s_wakeup
	;;#ASMEND
.LBB2_1049:                             ;   in Loop: Header=BB2_1010 Depth=2
	s_or_b64 exec, exec, s[78:79]
.LBB2_1050:                             ;   in Loop: Header=BB2_1010 Depth=2
	s_andn2_saveexec_b64 s[76:77], s[76:77]
	s_cbranch_execz .LBB2_1052
; %bb.1051:                             ;   in Loop: Header=BB2_1010 Depth=2
	s_waitcnt vmcnt(0) lgkmcnt(0)
	buffer_wbinvl1_vol
	s_barrier
.LBB2_1052:                             ;   in Loop: Header=BB2_1010 Depth=2
	s_or_b64 exec, exec, s[76:77]
.LBB2_1053:                             ;   in Loop: Header=BB2_1010 Depth=2
	s_or_b64 exec, exec, s[26:27]
	s_trap 2
	ds_read_b32 v16, v0
	v_and_b32_e32 v4, 0x4000, v47
	v_cmp_ne_u32_e32 vcc, 0, v4
	s_xor_b64 s[26:27], s[6:7], -1
	s_and_b64 s[76:77], s[26:27], vcc
	s_and_saveexec_b64 s[26:27], s[76:77]
	s_cbranch_execz .LBB2_1072
; %bb.1054:                             ;   in Loop: Header=BB2_1010 Depth=2
	s_and_saveexec_b64 s[76:77], s[56:57]
	s_xor_b64 s[76:77], exec, s[76:77]
	s_cbranch_execz .LBB2_1069
; %bb.1055:                             ;   in Loop: Header=BB2_1010 Depth=2
	s_and_saveexec_b64 s[78:79], s[16:17]
	s_cbranch_execz .LBB2_1068
; %bb.1056:                             ;   in Loop: Header=BB2_1010 Depth=2
	s_mov_b64 s[90:91], exec
	v_mbcnt_lo_u32_b32 v4, s90, 0
	v_mbcnt_hi_u32_b32 v4, s91, v4
	v_cmp_eq_u32_e32 vcc, 0, v4
	s_waitcnt vmcnt(0) lgkmcnt(0)
	buffer_wbinvl1_vol
	s_and_saveexec_b64 s[88:89], vcc
	s_cbranch_execz .LBB2_1058
; %bb.1057:                             ;   in Loop: Header=BB2_1010 Depth=2
	s_bcnt1_i32_b64 s90, s[90:91]
	v_mov_b32_e32 v4, s90
	v_mov_b32_e32 v5, v2
	ds_add_u64 v0, v[4:5]
	s_trap 2
.LBB2_1058:                             ;   in Loop: Header=BB2_1010 Depth=2
	s_or_b64 exec, exec, s[88:89]
	s_trap 2
	ds_read_b64 v[4:5], v0
	s_waitcnt lgkmcnt(0)
	v_add_co_u32_e32 v12, vcc, v12, v57
	v_addc_co_u32_e32 v13, vcc, 0, v13, vcc
	v_cmp_lt_u64_e32 vcc, v[4:5], v[12:13]
	s_and_saveexec_b64 s[88:89], vcc
	s_cbranch_execz .LBB2_1067
; %bb.1059:                             ;   in Loop: Header=BB2_1010 Depth=2
	s_mov_b32 s36, 0
	s_mov_b64 s[90:91], 0
                                        ; implicit-def: $sgpr92_sgpr93
                                        ; implicit-def: $sgpr94_sgpr95
	s_branch .LBB2_1061
.LBB2_1060:                             ;   in Loop: Header=BB2_1061 Depth=3
	s_or_b64 exec, exec, s[34:35]
	s_and_b64 vcc, exec, vcc
	s_or_b64 s[90:91], vcc, s[90:91]
	s_andn2_b64 s[92:93], s[92:93], exec
	s_and_b64 vcc, s[94:95], exec
	s_or_b64 s[92:93], s[92:93], vcc
	s_andn2_b64 exec, exec, s[90:91]
	s_cbranch_execz .LBB2_1065
.LBB2_1061:                             ;   Parent Loop BB2_47 Depth=1
                                        ;     Parent Loop BB2_1010 Depth=2
                                        ; =>    This Inner Loop Header: Depth=3
	s_add_i32 s36, s36, 1
	s_cmpk_lg_i32 s36, 0x2710
	s_cselect_b64 s[30:31], -1, 0
	s_and_b64 vcc, exec, s[30:31]
	s_cbranch_vccz .LBB2_1063
; %bb.1062:                             ;   in Loop: Header=BB2_1061 Depth=3
	s_mov_b64 vcc, -1
	s_or_b64 s[94:95], s[94:95], exec
	s_and_saveexec_b64 s[34:35], s[30:31]
	s_cbranch_execz .LBB2_1060
	s_branch .LBB2_1064
.LBB2_1063:                             ;   in Loop: Header=BB2_1061 Depth=3
	s_trap 2
	ds_read_b64 v[4:5], v0
	s_andn2_b64 s[30:31], s[30:31], exec
	s_mov_b32 s36, 0
	s_waitcnt lgkmcnt(0)
	flat_load_dword v4, v[4:5] glc
	s_waitcnt vmcnt(0) lgkmcnt(0)
	buffer_wbinvl1_vol
	v_cmp_eq_u32_e32 vcc, 0, v4
	s_and_b64 vcc, vcc, exec
	s_or_b64 s[30:31], s[30:31], vcc
	s_mov_b64 vcc, -1
	s_or_b64 s[94:95], s[94:95], exec
	s_and_saveexec_b64 s[34:35], s[30:31]
	s_cbranch_execz .LBB2_1060
.LBB2_1064:                             ;   in Loop: Header=BB2_1061 Depth=3
	s_sleep 1
	s_trap 2
	ds_read_b64 v[4:5], v0
	s_waitcnt lgkmcnt(0)
	s_andn2_b64 s[94:95], s[94:95], exec
	v_cmp_ge_u64_e32 vcc, v[4:5], v[12:13]
	s_orn2_b64 vcc, vcc, exec
	s_branch .LBB2_1060
.LBB2_1065:                             ;   in Loop: Header=BB2_1010 Depth=2
	s_or_b64 exec, exec, s[90:91]
	s_and_saveexec_b64 s[90:91], s[92:93]
	s_xor_b64 s[90:91], exec, s[90:91]
	s_cbranch_execz .LBB2_1067
; %bb.1066:                             ;   in Loop: Header=BB2_1010 Depth=2
	ds_write_b32 v0, v62
	s_trap 2
.LBB2_1067:                             ;   in Loop: Header=BB2_1010 Depth=2
	s_or_b64 exec, exec, s[88:89]
	;;#ASMSTART
	s_wakeup
	;;#ASMEND
.LBB2_1068:                             ;   in Loop: Header=BB2_1010 Depth=2
	s_or_b64 exec, exec, s[78:79]
.LBB2_1069:                             ;   in Loop: Header=BB2_1010 Depth=2
	s_andn2_saveexec_b64 s[76:77], s[76:77]
	s_cbranch_execz .LBB2_1071
; %bb.1070:                             ;   in Loop: Header=BB2_1010 Depth=2
	s_waitcnt vmcnt(0) lgkmcnt(0)
	buffer_wbinvl1_vol
	s_barrier
.LBB2_1071:                             ;   in Loop: Header=BB2_1010 Depth=2
	s_or_b64 exec, exec, s[76:77]
.LBB2_1072:                             ;   in Loop: Header=BB2_1010 Depth=2
	s_or_b64 exec, exec, s[26:27]
	s_trap 2
	ds_read_b64 v[8:9], v0
	v_sub_u32_e32 v4, v1, v50
	v_min_i32_e32 v3, v3, v4
	s_waitcnt lgkmcnt(0)
	v_cmp_eq_u64_e32 vcc, 0, v[8:9]
	s_cbranch_vccnz .LBB2_1080
; %bb.1073:                             ;   in Loop: Header=BB2_1010 Depth=2
	s_trap 2
	ds_read_b64 v[10:11], v0
	s_waitcnt lgkmcnt(0)
	v_cmp_eq_u64_e32 vcc, 0, v[10:11]
	s_cbranch_vccnz .LBB2_1080
; %bb.1074:                             ;   in Loop: Header=BB2_1010 Depth=2
	s_mov_b64 s[26:27], -1
	s_and_saveexec_b64 s[76:77], s[20:21]
	s_cbranch_execz .LBB2_1076
; %bb.1075:                             ;   in Loop: Header=BB2_1010 Depth=2
	ds_read_b32 v4, v0 offset:720
	s_waitcnt lgkmcnt(0)
	v_and_b32_e32 v4, 15, v4
	v_cmp_eq_u32_e32 vcc, 0, v4
	s_orn2_b64 s[26:27], vcc, exec
.LBB2_1076:                             ;   in Loop: Header=BB2_1010 Depth=2
	s_or_b64 exec, exec, s[76:77]
	s_and_saveexec_b64 s[76:77], s[18:19]
	s_cbranch_execz .LBB2_1078
; %bb.1077:                             ;   in Loop: Header=BB2_1010 Depth=2
	ds_read_b32 v4, v0 offset:784
	s_waitcnt lgkmcnt(0)
	v_and_b32_e32 v4, 15, v4
	v_cmp_eq_u32_e32 vcc, 0, v4
	s_and_b64 s[78:79], s[26:27], vcc
	s_andn2_b64 s[26:27], s[26:27], exec
	s_and_b64 s[78:79], s[78:79], exec
	s_or_b64 s[26:27], s[26:27], s[78:79]
.LBB2_1078:                             ;   in Loop: Header=BB2_1010 Depth=2
	s_or_b64 exec, exec, s[76:77]
	v_cmp_eq_u32_e32 vcc, 0, v16
	s_xor_b64 s[26:27], s[26:27], -1
	v_cndmask_b32_e32 v16, 0, v3, vcc
	v_cndmask_b32_e64 v4, 0, 1, s[26:27]
	s_mov_b64 s[78:79], -1
	v_cmp_ne_u32_e32 vcc, 0, v4
	v_mov_b32_e32 v17, 0
	v_mov_b32_e32 v18, v16
	;; [unrolled: 1-line block ×3, first 2 shown]
	s_cbranch_vccz .LBB2_1085
; %bb.1079:                             ;   in Loop: Header=BB2_1010 Depth=2
	s_and_saveexec_b64 s[26:27], s[78:79]
	s_cbranch_execnz .LBB2_1096
	s_branch .LBB2_1104
.LBB2_1080:                             ;   in Loop: Header=BB2_1010 Depth=2
	s_mov_b64 s[26:27], 0
	s_and_saveexec_b64 s[76:77], s[10:11]
	s_cbranch_execnz .LBB2_1105
.LBB2_1081:                             ;   in Loop: Header=BB2_1010 Depth=2
	s_or_b64 exec, exec, s[76:77]
	s_and_saveexec_b64 s[76:77], s[24:25]
	s_xor_b64 s[76:77], exec, s[76:77]
	s_cbranch_execz .LBB2_1123
.LBB2_1082:                             ;   in Loop: Header=BB2_1010 Depth=2
	v_and_b32_e32 v4, 16, v47
	v_cmp_ne_u32_e32 vcc, 0, v4
	s_and_b64 s[78:79], vcc, s[26:27]
	s_and_saveexec_b64 s[26:27], s[78:79]
	s_cbranch_execz .LBB2_1084
; %bb.1083:                             ;   in Loop: Header=BB2_1010 Depth=2
	s_waitcnt vmcnt(0) lgkmcnt(0)
	buffer_wbinvl1_vol
.LBB2_1084:                             ;   in Loop: Header=BB2_1010 Depth=2
	s_or_b64 exec, exec, s[26:27]
	s_andn2_saveexec_b64 s[26:27], s[76:77]
	s_cbranch_execz .LBB2_1142
	s_branch .LBB2_1124
.LBB2_1085:                             ;   in Loop: Header=BB2_1010 Depth=2
	v_ashrrev_i32_e32 v4, 31, v16
	v_lshrrev_b32_e32 v4, 21, v4
	v_add_u32_e32 v4, v16, v4
	v_ashrrev_i32_e32 v17, 11, v4
	buffer_load_dword v4, off, s[0:3], s33 offset:92 ; 4-byte Folded Reload
	s_waitcnt vmcnt(0)
	v_sub_u32_e32 v52, v17, v4
	v_cmp_lt_i32_e32 vcc, 0, v52
	s_and_saveexec_b64 s[26:27], vcc
	s_cbranch_execz .LBB2_1089
; %bb.1086:                             ;   in Loop: Header=BB2_1010 Depth=2
	buffer_load_dword v48, off, s[0:3], s33 offset:120 ; 4-byte Folded Reload
	buffer_load_dword v49, off, s[0:3], s33 offset:124 ; 4-byte Folded Reload
	s_mov_b64 s[76:77], 0
	v_lshlrev_b32_e32 v30, 11, v57
.LBB2_1087:                             ;   Parent Loop BB2_47 Depth=1
                                        ;     Parent Loop BB2_1010 Depth=2
                                        ; =>    This Inner Loop Header: Depth=3
	s_waitcnt vmcnt(1)
	v_add_co_u32_e32 v18, vcc, v8, v48
	s_waitcnt vmcnt(0)
	v_addc_co_u32_e32 v19, vcc, v9, v49, vcc
	global_load_dwordx4 v[4:7], v[18:19], off glc slc
	global_load_dwordx4 v[34:37], v[18:19], off offset:1024 glc slc
	v_add_co_u32_e32 v18, vcc, v10, v48
	v_addc_co_u32_e32 v19, vcc, v11, v49, vcc
	v_add_co_u32_e32 v48, vcc, v48, v30
	v_sub_u32_e32 v52, v52, v57
	v_addc_co_u32_e32 v49, vcc, 0, v49, vcc
	v_cmp_gt_i32_e32 vcc, 1, v52
	s_or_b64 s[76:77], vcc, s[76:77]
	s_waitcnt vmcnt(1)
	global_store_dwordx4 v[18:19], v[4:7], off glc slc
	s_waitcnt vmcnt(1)
	global_store_dwordx4 v[18:19], v[34:37], off offset:1024 glc slc
	s_andn2_b64 exec, exec, s[76:77]
	s_cbranch_execnz .LBB2_1087
; %bb.1088:                             ;   in Loop: Header=BB2_1010 Depth=2
	s_or_b64 exec, exec, s[76:77]
	buffer_load_dword v34, off, s[0:3], s33 offset:76 ; 4-byte Folded Reload
	buffer_load_dword v35, off, s[0:3], s33 offset:80 ; 4-byte Folded Reload
	;; [unrolled: 1-line block ×4, first 2 shown]
	v_mov_b32_e32 v19, 0x90
.LBB2_1089:                             ;   in Loop: Header=BB2_1010 Depth=2
	s_or_b64 exec, exec, s[26:27]
	v_lshlrev_b32_e32 v48, 11, v17
	v_cmp_ne_u32_e32 vcc, v16, v48
	s_mov_b64 s[78:79], 0
	v_mov_b32_e32 v17, 0
                                        ; implicit-def: $vgpr18
                                        ; implicit-def: $vgpr30
	s_and_saveexec_b64 s[76:77], vcc
	s_cbranch_execz .LBB2_1095
; %bb.1090:                             ;   in Loop: Header=BB2_1010 Depth=2
	v_lshlrev_b32_e32 v5, 6, v52
	v_sub_u32_e32 v5, v58, v5
	v_ashrrev_i32_e32 v6, 31, v5
	v_lshrrev_b32_e32 v6, 26, v6
	v_add_u32_e32 v6, v5, v6
	v_ashrrev_i32_e32 v7, 6, v6
	v_and_b32_e32 v6, 0xffffffc0, v6
	v_sub_u32_e32 v30, v5, v6
	v_sub_u32_e32 v4, v16, v48
	v_lshlrev_b32_e32 v5, 4, v30
	v_lshl_add_u32 v53, v7, 10, v5
	v_ashrrev_i32_e32 v5, 31, v4
	v_lshrrev_b32_e32 v5, 22, v5
	v_add_u32_e32 v5, v4, v5
	v_and_b32_e32 v17, 0xfffffc00, v5
	v_sub_u32_e32 v18, v4, v17
	v_ashrrev_i32_e32 v6, 10, v5
	v_cmp_lt_i32_e32 vcc, 15, v18
	v_sub_u32_e32 v52, v4, v53
	v_addc_co_u32_e64 v4, s[26:27], 0, v6, vcc
	v_sub_u32_e32 v49, v4, v7
	v_cmp_lt_i32_e64 s[26:27], 15, v52
	s_and_saveexec_b64 s[78:79], s[26:27]
	s_cbranch_execz .LBB2_1094
; %bb.1091:                             ;   in Loop: Header=BB2_1010 Depth=2
	v_add_u32_e32 v53, v53, v48
	v_ashrrev_i32_e32 v54, 31, v53
	s_mov_b64 s[88:89], 0
.LBB2_1092:                             ;   Parent Loop BB2_47 Depth=1
                                        ;     Parent Loop BB2_1010 Depth=2
                                        ; =>    This Inner Loop Header: Depth=3
	v_add_co_u32_e64 v4, s[26:27], v8, v53
	v_addc_co_u32_e64 v5, s[26:27], v9, v54, s[26:27]
	global_load_dwordx4 v[4:7], v[4:5], off glc slc
	s_waitcnt vmcnt(4)
	v_add_co_u32_e64 v34, s[26:27], v10, v53
	s_waitcnt vmcnt(3)
	v_addc_co_u32_e64 v35, s[26:27], v11, v54, s[26:27]
	v_add_co_u32_e64 v53, s[26:27], v53, v14
	v_sub_u32_e32 v52, v52, v14
	v_addc_co_u32_e64 v54, s[26:27], 0, v54, s[26:27]
	v_cmp_gt_i32_e64 s[26:27], 16, v52
	v_sub_u32_e32 v49, v49, v57
	s_or_b64 s[88:89], s[26:27], s[88:89]
	s_waitcnt vmcnt(0)
	global_store_dwordx4 v[34:35], v[4:7], off glc slc
	s_andn2_b64 exec, exec, s[88:89]
	s_cbranch_execnz .LBB2_1092
; %bb.1093:                             ;   in Loop: Header=BB2_1010 Depth=2
	s_or_b64 exec, exec, s[88:89]
	buffer_load_dword v34, off, s[0:3], s33 offset:76 ; 4-byte Folded Reload
	buffer_load_dword v35, off, s[0:3], s33 offset:80 ; 4-byte Folded Reload
	;; [unrolled: 1-line block ×4, first 2 shown]
.LBB2_1094:                             ;   in Loop: Header=BB2_1010 Depth=2
	s_or_b64 exec, exec, s[78:79]
	v_and_b32_e32 v4, 15, v16
	v_sub_u32_e32 v5, v18, v4
	v_cndmask_b32_e32 v5, 0, v5, vcc
	v_cndmask_b32_e32 v18, v18, v4, vcc
	v_cmp_lt_i32_e32 vcc, 0, v49
	v_cndmask_b32_e32 v4, 0, v57, vcc
	v_sub_u32_e32 v4, v4, v49
	v_cmp_ne_u32_e32 vcc, 0, v18
	v_add3_u32 v17, v17, v48, v5
	v_lshl_add_u32 v30, v4, 6, v30
	s_and_b64 s[78:79], vcc, exec
.LBB2_1095:                             ;   in Loop: Header=BB2_1010 Depth=2
	s_or_b64 exec, exec, s[76:77]
	s_and_saveexec_b64 s[26:27], s[78:79]
	s_cbranch_execz .LBB2_1104
.LBB2_1096:                             ;   in Loop: Header=BB2_1010 Depth=2
	v_ashrrev_i32_e32 v4, 31, v30
	v_lshrrev_b32_e32 v4, 26, v4
	v_add_u32_e32 v53, v30, v4
	v_ashrrev_i32_e32 v4, 31, v18
	v_lshrrev_b32_e32 v4, 23, v4
	v_add_u32_e32 v4, v18, v4
	v_ashrrev_i32_e32 v48, 6, v53
	v_ashrrev_i32_e32 v52, 9, v4
	v_sub_u32_e32 v49, v52, v48
	v_cmp_lt_i32_e32 vcc, 0, v49
	s_and_saveexec_b64 s[76:77], vcc
	s_cbranch_execz .LBB2_1100
; %bb.1097:                             ;   in Loop: Header=BB2_1010 Depth=2
	v_and_b32_e32 v4, 0xffffffc0, v53
	v_sub_u32_e32 v4, v30, v4
	v_lshlrev_b32_e32 v5, 9, v48
	v_add3_u32 v53, v17, v4, v5
	v_ashrrev_i32_e32 v54, 31, v53
	s_mov_b64 s[78:79], 0
.LBB2_1098:                             ;   Parent Loop BB2_47 Depth=1
                                        ;     Parent Loop BB2_1010 Depth=2
                                        ; =>    This Inner Loop Header: Depth=3
	v_add_co_u32_e32 v4, vcc, v53, v8
	v_addc_co_u32_e32 v5, vcc, v54, v9, vcc
	flat_load_ubyte v6, v[4:5] glc slc
	flat_load_ubyte v7, v[4:5] offset:64 glc slc
	flat_load_ubyte v19, v[4:5] offset:128 glc slc
	s_waitcnt vmcnt(0)
	flat_load_ubyte v34, v[4:5] offset:192 glc slc
	flat_load_ubyte v35, v[4:5] offset:256 glc slc
	;; [unrolled: 1-line block ×5, first 2 shown]
	v_add_co_u32_e32 v4, vcc, v53, v10
	v_addc_co_u32_e32 v5, vcc, v54, v11, vcc
	v_add_co_u32_e32 v8, vcc, v8, v15
	v_addc_co_u32_e32 v9, vcc, 0, v9, vcc
	v_add_co_u32_e32 v10, vcc, v10, v15
	v_sub_u32_e32 v49, v49, v57
	v_addc_co_u32_e32 v11, vcc, 0, v11, vcc
	v_cmp_gt_i32_e32 vcc, 1, v49
	s_or_b64 s[78:79], vcc, s[78:79]
	s_waitcnt lgkmcnt(0)
	flat_store_byte v[4:5], v6 glc slc
	flat_store_byte v[4:5], v7 offset:64 glc slc
	flat_store_byte v[4:5], v19 offset:128 glc slc
	s_waitcnt vmcnt(0)
	flat_store_byte v[4:5], v34 offset:192 glc slc
	flat_store_byte v[4:5], v35 offset:256 glc slc
	;; [unrolled: 1-line block ×5, first 2 shown]
	s_andn2_b64 exec, exec, s[78:79]
	s_cbranch_execnz .LBB2_1098
; %bb.1099:                             ;   in Loop: Header=BB2_1010 Depth=2
	s_or_b64 exec, exec, s[78:79]
	buffer_load_dword v34, off, s[0:3], s33 offset:76 ; 4-byte Folded Reload
	buffer_load_dword v35, off, s[0:3], s33 offset:80 ; 4-byte Folded Reload
	;; [unrolled: 1-line block ×4, first 2 shown]
	v_mov_b32_e32 v19, 0x90
.LBB2_1100:                             ;   in Loop: Header=BB2_1010 Depth=2
	s_or_b64 exec, exec, s[76:77]
	v_lshlrev_b32_e32 v8, 9, v52
	v_cmp_ne_u32_e32 vcc, v18, v8
	s_and_b64 exec, exec, vcc
	s_cbranch_execz .LBB2_1104
; %bb.1101:                             ;   in Loop: Header=BB2_1010 Depth=2
	v_lshlrev_b32_e32 v4, 6, v48
	v_sub_u32_e32 v4, v30, v4
	v_lshlrev_b32_e32 v5, 6, v49
	v_sub_u32_e32 v4, v4, v5
	v_add_u32_e32 v8, v8, v4
	v_sub_u32_e32 v10, v18, v8
	v_cmp_lt_i32_e32 vcc, 0, v10
	s_and_b64 exec, exec, vcc
	s_cbranch_execz .LBB2_1104
; %bb.1102:                             ;   in Loop: Header=BB2_1010 Depth=2
	v_add_u32_e32 v11, v8, v17
	s_trap 2
	ds_read_b64 v[8:9], v0
	v_ashrrev_i32_e32 v17, 31, v11
	s_mov_b64 s[76:77], 0
.LBB2_1103:                             ;   Parent Loop BB2_47 Depth=1
                                        ;     Parent Loop BB2_1010 Depth=2
                                        ; =>    This Inner Loop Header: Depth=3
	s_waitcnt lgkmcnt(0)
	v_add_co_u32_e32 v4, vcc, v8, v11
	v_addc_co_u32_e32 v5, vcc, v9, v17, vcc
	flat_load_ubyte v6, v[4:5] glc slc
	v_add_co_u32_e32 v11, vcc, v11, v60
	v_sub_u32_e32 v10, v10, v60
	v_addc_co_u32_e32 v17, vcc, 0, v17, vcc
	v_cmp_gt_i32_e32 vcc, 1, v10
	s_or_b64 s[76:77], vcc, s[76:77]
	s_waitcnt vmcnt(0) lgkmcnt(0)
	flat_store_byte v[4:5], v6 glc slc
	s_andn2_b64 exec, exec, s[76:77]
	s_cbranch_execnz .LBB2_1103
.LBB2_1104:                             ;   in Loop: Header=BB2_1010 Depth=2
	s_or_b64 exec, exec, s[26:27]
	v_cmp_lt_i32_e64 s[26:27], 0, v16
	v_lshlrev_b32_e32 v49, 11, v57
	s_and_saveexec_b64 s[76:77], s[10:11]
	s_cbranch_execz .LBB2_1081
.LBB2_1105:                             ;   in Loop: Header=BB2_1010 Depth=2
	s_and_saveexec_b64 s[78:79], s[56:57]
	s_xor_b64 s[78:79], exec, s[78:79]
	s_cbranch_execz .LBB2_1120
; %bb.1106:                             ;   in Loop: Header=BB2_1010 Depth=2
	s_and_saveexec_b64 s[88:89], s[16:17]
	s_cbranch_execz .LBB2_1119
; %bb.1107:                             ;   in Loop: Header=BB2_1010 Depth=2
	s_mov_b64 s[92:93], exec
	v_mbcnt_lo_u32_b32 v4, s92, 0
	v_mbcnt_hi_u32_b32 v4, s93, v4
	v_cmp_eq_u32_e32 vcc, 0, v4
	s_waitcnt vmcnt(0) lgkmcnt(0)
	buffer_wbinvl1_vol
	s_and_saveexec_b64 s[90:91], vcc
	s_cbranch_execz .LBB2_1109
; %bb.1108:                             ;   in Loop: Header=BB2_1010 Depth=2
	s_bcnt1_i32_b64 s92, s[92:93]
	v_mov_b32_e32 v4, s92
	v_mov_b32_e32 v5, v2
	ds_add_u64 v0, v[4:5]
	s_trap 2
.LBB2_1109:                             ;   in Loop: Header=BB2_1010 Depth=2
	s_or_b64 exec, exec, s[90:91]
	s_trap 2
	ds_read_b64 v[4:5], v0
	s_waitcnt lgkmcnt(0)
	v_add_co_u32_e32 v12, vcc, v12, v57
	v_addc_co_u32_e32 v13, vcc, 0, v13, vcc
	v_cmp_lt_u64_e32 vcc, v[4:5], v[12:13]
	s_and_saveexec_b64 s[90:91], vcc
	s_cbranch_execz .LBB2_1118
; %bb.1110:                             ;   in Loop: Header=BB2_1010 Depth=2
	s_mov_b32 s38, 0
	s_mov_b64 s[92:93], 0
                                        ; implicit-def: $sgpr94_sgpr95
                                        ; implicit-def: $sgpr30_sgpr31
	s_branch .LBB2_1112
.LBB2_1111:                             ;   in Loop: Header=BB2_1112 Depth=3
	s_or_b64 exec, exec, s[36:37]
	s_and_b64 vcc, exec, vcc
	s_or_b64 s[92:93], vcc, s[92:93]
	s_andn2_b64 s[94:95], s[94:95], exec
	s_and_b64 vcc, s[30:31], exec
	s_or_b64 s[94:95], s[94:95], vcc
	s_andn2_b64 exec, exec, s[92:93]
	s_cbranch_execz .LBB2_1116
.LBB2_1112:                             ;   Parent Loop BB2_47 Depth=1
                                        ;     Parent Loop BB2_1010 Depth=2
                                        ; =>    This Inner Loop Header: Depth=3
	s_add_i32 s38, s38, 1
	s_cmpk_lg_i32 s38, 0x2710
	s_cselect_b64 s[34:35], -1, 0
	s_and_b64 vcc, exec, s[34:35]
	s_cbranch_vccz .LBB2_1114
; %bb.1113:                             ;   in Loop: Header=BB2_1112 Depth=3
	s_mov_b64 vcc, -1
	s_or_b64 s[30:31], s[30:31], exec
	s_and_saveexec_b64 s[36:37], s[34:35]
	s_cbranch_execz .LBB2_1111
	s_branch .LBB2_1115
.LBB2_1114:                             ;   in Loop: Header=BB2_1112 Depth=3
	s_trap 2
	ds_read_b64 v[4:5], v0
	s_andn2_b64 s[34:35], s[34:35], exec
	s_mov_b32 s38, 0
	s_waitcnt lgkmcnt(0)
	flat_load_dword v4, v[4:5] glc
	s_waitcnt vmcnt(0) lgkmcnt(0)
	buffer_wbinvl1_vol
	v_cmp_eq_u32_e32 vcc, 0, v4
	s_and_b64 vcc, vcc, exec
	s_or_b64 s[34:35], s[34:35], vcc
	s_mov_b64 vcc, -1
	s_or_b64 s[30:31], s[30:31], exec
	s_and_saveexec_b64 s[36:37], s[34:35]
	s_cbranch_execz .LBB2_1111
.LBB2_1115:                             ;   in Loop: Header=BB2_1112 Depth=3
	s_sleep 1
	s_trap 2
	ds_read_b64 v[4:5], v0
	s_waitcnt lgkmcnt(0)
	s_andn2_b64 s[30:31], s[30:31], exec
	v_cmp_ge_u64_e32 vcc, v[4:5], v[12:13]
	s_orn2_b64 vcc, vcc, exec
	s_branch .LBB2_1111
.LBB2_1116:                             ;   in Loop: Header=BB2_1010 Depth=2
	s_or_b64 exec, exec, s[92:93]
	s_and_saveexec_b64 s[92:93], s[94:95]
	s_xor_b64 s[92:93], exec, s[92:93]
	s_cbranch_execz .LBB2_1118
; %bb.1117:                             ;   in Loop: Header=BB2_1010 Depth=2
	ds_write_b32 v0, v62
	s_trap 2
.LBB2_1118:                             ;   in Loop: Header=BB2_1010 Depth=2
	s_or_b64 exec, exec, s[90:91]
	;;#ASMSTART
	s_wakeup
	;;#ASMEND
.LBB2_1119:                             ;   in Loop: Header=BB2_1010 Depth=2
	s_or_b64 exec, exec, s[88:89]
.LBB2_1120:                             ;   in Loop: Header=BB2_1010 Depth=2
	s_andn2_saveexec_b64 s[78:79], s[78:79]
	s_cbranch_execz .LBB2_1122
; %bb.1121:                             ;   in Loop: Header=BB2_1010 Depth=2
	s_waitcnt vmcnt(0) lgkmcnt(0)
	buffer_wbinvl1_vol
	s_barrier
.LBB2_1122:                             ;   in Loop: Header=BB2_1010 Depth=2
	s_or_b64 exec, exec, s[78:79]
	s_or_b64 exec, exec, s[76:77]
	s_and_saveexec_b64 s[76:77], s[24:25]
	s_xor_b64 s[76:77], exec, s[76:77]
	s_cbranch_execnz .LBB2_1082
.LBB2_1123:                             ;   in Loop: Header=BB2_1010 Depth=2
	s_andn2_saveexec_b64 s[26:27], s[76:77]
	s_cbranch_execz .LBB2_1142
.LBB2_1124:                             ;   in Loop: Header=BB2_1010 Depth=2
	s_and_saveexec_b64 s[76:77], s[56:57]
	s_xor_b64 s[76:77], exec, s[76:77]
	s_cbranch_execz .LBB2_1139
; %bb.1125:                             ;   in Loop: Header=BB2_1010 Depth=2
	s_and_saveexec_b64 s[78:79], s[16:17]
	s_cbranch_execz .LBB2_1138
; %bb.1126:                             ;   in Loop: Header=BB2_1010 Depth=2
	s_mov_b64 s[90:91], exec
	v_mbcnt_lo_u32_b32 v4, s90, 0
	v_mbcnt_hi_u32_b32 v4, s91, v4
	v_cmp_eq_u32_e32 vcc, 0, v4
	;;#ASMSTART
	s_waitcnt lgkmcnt(0) vmcnt(0)
	;;#ASMEND
	s_and_saveexec_b64 s[88:89], vcc
	s_cbranch_execz .LBB2_1128
; %bb.1127:                             ;   in Loop: Header=BB2_1010 Depth=2
	s_bcnt1_i32_b64 s90, s[90:91]
	v_mov_b32_e32 v4, s90
	v_mov_b32_e32 v5, v2
	s_waitcnt lgkmcnt(0)
	ds_add_u64 v0, v[4:5]
	s_trap 2
.LBB2_1128:                             ;   in Loop: Header=BB2_1010 Depth=2
	s_or_b64 exec, exec, s[88:89]
	s_trap 2
	ds_read_b64 v[4:5], v0
	s_waitcnt lgkmcnt(0)
	v_add_co_u32_e32 v12, vcc, v12, v57
	v_addc_co_u32_e32 v13, vcc, 0, v13, vcc
	v_cmp_lt_u64_e32 vcc, v[4:5], v[12:13]
	s_and_saveexec_b64 s[88:89], vcc
	s_cbranch_execz .LBB2_1137
; %bb.1129:                             ;   in Loop: Header=BB2_1010 Depth=2
	s_mov_b32 s36, 0
	s_mov_b64 s[90:91], 0
                                        ; implicit-def: $sgpr92_sgpr93
                                        ; implicit-def: $sgpr94_sgpr95
	s_branch .LBB2_1131
.LBB2_1130:                             ;   in Loop: Header=BB2_1131 Depth=3
	s_or_b64 exec, exec, s[34:35]
	s_and_b64 vcc, exec, vcc
	s_or_b64 s[90:91], vcc, s[90:91]
	s_andn2_b64 s[92:93], s[92:93], exec
	s_and_b64 vcc, s[94:95], exec
	s_or_b64 s[92:93], s[92:93], vcc
	s_andn2_b64 exec, exec, s[90:91]
	s_cbranch_execz .LBB2_1135
.LBB2_1131:                             ;   Parent Loop BB2_47 Depth=1
                                        ;     Parent Loop BB2_1010 Depth=2
                                        ; =>    This Inner Loop Header: Depth=3
	s_add_i32 s36, s36, 1
	s_cmpk_lg_i32 s36, 0x2710
	s_cselect_b64 s[30:31], -1, 0
	s_and_b64 vcc, exec, s[30:31]
	s_cbranch_vccz .LBB2_1133
; %bb.1132:                             ;   in Loop: Header=BB2_1131 Depth=3
	s_mov_b64 vcc, -1
	s_or_b64 s[94:95], s[94:95], exec
	s_and_saveexec_b64 s[34:35], s[30:31]
	s_cbranch_execz .LBB2_1130
	s_branch .LBB2_1134
.LBB2_1133:                             ;   in Loop: Header=BB2_1131 Depth=3
	s_trap 2
	ds_read_b64 v[4:5], v0
	s_andn2_b64 s[30:31], s[30:31], exec
	s_mov_b32 s36, 0
	s_waitcnt vmcnt(0) lgkmcnt(0)
	flat_load_dword v4, v[4:5] glc
	s_waitcnt vmcnt(0) lgkmcnt(0)
	buffer_wbinvl1_vol
	v_cmp_eq_u32_e32 vcc, 0, v4
	s_and_b64 vcc, vcc, exec
	s_or_b64 s[30:31], s[30:31], vcc
	s_mov_b64 vcc, -1
	s_or_b64 s[94:95], s[94:95], exec
	s_and_saveexec_b64 s[34:35], s[30:31]
	s_cbranch_execz .LBB2_1130
.LBB2_1134:                             ;   in Loop: Header=BB2_1131 Depth=3
	s_sleep 1
	s_trap 2
	ds_read_b64 v[4:5], v0
	s_waitcnt lgkmcnt(0)
	s_andn2_b64 s[94:95], s[94:95], exec
	v_cmp_ge_u64_e32 vcc, v[4:5], v[12:13]
	s_orn2_b64 vcc, vcc, exec
	s_branch .LBB2_1130
.LBB2_1135:                             ;   in Loop: Header=BB2_1010 Depth=2
	s_or_b64 exec, exec, s[90:91]
	s_and_saveexec_b64 s[90:91], s[92:93]
	s_xor_b64 s[90:91], exec, s[90:91]
	s_cbranch_execz .LBB2_1137
; %bb.1136:                             ;   in Loop: Header=BB2_1010 Depth=2
	ds_write_b32 v0, v62
	s_trap 2
.LBB2_1137:                             ;   in Loop: Header=BB2_1010 Depth=2
	s_or_b64 exec, exec, s[88:89]
	;;#ASMSTART
	s_wakeup
	;;#ASMEND
.LBB2_1138:                             ;   in Loop: Header=BB2_1010 Depth=2
	s_or_b64 exec, exec, s[78:79]
.LBB2_1139:                             ;   in Loop: Header=BB2_1010 Depth=2
	s_andn2_saveexec_b64 s[76:77], s[76:77]
	s_cbranch_execz .LBB2_1141
; %bb.1140:                             ;   in Loop: Header=BB2_1010 Depth=2
	;;#ASMSTART
	s_waitcnt lgkmcnt(0) vmcnt(0)
	;;#ASMEND
	s_waitcnt vmcnt(0) lgkmcnt(0)
	s_barrier
.LBB2_1141:                             ;   in Loop: Header=BB2_1010 Depth=2
	s_or_b64 exec, exec, s[76:77]
.LBB2_1142:                             ;   in Loop: Header=BB2_1010 Depth=2
	s_or_b64 exec, exec, s[26:27]
	v_and_b32_e32 v4, 32, v47
	v_cmp_ne_u32_e32 vcc, 0, v4
	s_and_saveexec_b64 s[26:27], vcc
	s_cbranch_execz .LBB2_1009
; %bb.1143:                             ;   in Loop: Header=BB2_1010 Depth=2
	v_add_co_u32_e32 v38, vcc, 2, v38
	v_addc_co_u32_e32 v39, vcc, 0, v39, vcc
	flat_store_dwordx2 v[20:21], v[38:39]
	s_branch .LBB2_1009
.LBB2_1144:                             ;   in Loop: Header=BB2_47 Depth=1
	s_or_b64 exec, exec, s[40:41]
.LBB2_1145:                             ;   in Loop: Header=BB2_47 Depth=1
	s_or_b64 exec, exec, s[28:29]
	v_cmp_gt_i32_e32 vcc, 2, v10
	s_and_saveexec_b64 s[28:29], vcc
	s_cbranch_execz .LBB2_46
; %bb.1146:                             ;   in Loop: Header=BB2_47 Depth=1
	v_cmp_eq_u32_e64 s[42:43], 0, v10
	s_mov_b64 s[40:41], 0
	s_branch .LBB2_1148
.LBB2_1147:                             ;   in Loop: Header=BB2_1148 Depth=2
	s_or_b64 exec, exec, s[26:27]
	v_add_u32_e32 v50, v3, v50
	s_mov_b64 s[42:43], 0
	s_andn2_b64 exec, exec, s[40:41]
	s_cbranch_execz .LBB2_45
.LBB2_1148:                             ;   Parent Loop BB2_47 Depth=1
                                        ; =>  This Loop Header: Depth=2
                                        ;       Child Loop BB2_1154 Depth 3
                                        ;       Child Loop BB2_1178 Depth 3
	;; [unrolled: 1-line block ×3, first 2 shown]
	v_and_b32_e32 v4, 4, v47
	v_cmp_ne_u32_e32 vcc, 0, v4
	s_and_saveexec_b64 s[76:77], vcc
	s_cbranch_execz .LBB2_1170
; %bb.1149:                             ;   in Loop: Header=BB2_1148 Depth=2
	v_add_co_u32_e32 v8, vcc, 2, v38
	v_addc_co_u32_e32 v9, vcc, 0, v39, vcc
	s_waitcnt vmcnt(0) lgkmcnt(0)
	v_cmp_lt_u64_e32 vcc, v[26:27], v[8:9]
	s_and_saveexec_b64 s[78:79], vcc
	s_cbranch_execz .LBB2_1161
; %bb.1150:                             ;   in Loop: Header=BB2_1148 Depth=2
	v_and_b32_e32 v4, 64, v47
	s_mov_b32 s75, 0
	v_cmp_eq_u32_e32 vcc, 0, v4
	s_mov_b64 s[88:89], 0
                                        ; implicit-def: $sgpr90_sgpr91
                                        ; implicit-def: $sgpr92_sgpr93
                                        ; implicit-def: $sgpr94_sgpr95
	s_branch .LBB2_1154
.LBB2_1151:                             ;   in Loop: Header=BB2_1154 Depth=3
	s_waitcnt vmcnt(0) lgkmcnt(0)
	v_cmp_ge_u64_e64 s[26:27], v[26:27], v[8:9]
	s_or_b64 s[36:37], s[36:37], exec
	s_orn2_b64 s[34:35], s[26:27], exec
.LBB2_1152:                             ;   in Loop: Header=BB2_1154 Depth=3
	s_or_b64 exec, exec, s[48:49]
	s_andn2_b64 s[26:27], s[94:95], exec
	s_and_b64 s[94:95], s[36:37], exec
	s_or_b64 s[94:95], s[26:27], s[94:95]
	s_andn2_b64 s[26:27], s[92:93], exec
	s_and_b64 s[92:93], s[34:35], exec
	s_or_b64 s[92:93], s[26:27], s[92:93]
.LBB2_1153:                             ;   in Loop: Header=BB2_1154 Depth=3
	s_or_b64 exec, exec, s[30:31]
	s_and_b64 s[26:27], exec, s[92:93]
	s_or_b64 s[88:89], s[26:27], s[88:89]
	s_andn2_b64 s[26:27], s[90:91], exec
	s_and_b64 s[90:91], s[94:95], exec
	s_or_b64 s[90:91], s[26:27], s[90:91]
	s_andn2_b64 exec, exec, s[88:89]
	s_cbranch_execz .LBB2_1158
.LBB2_1154:                             ;   Parent Loop BB2_47 Depth=1
                                        ;     Parent Loop BB2_1148 Depth=2
                                        ; =>    This Inner Loop Header: Depth=3
	s_sleep 1
	s_waitcnt vmcnt(0) lgkmcnt(0)
	flat_load_dwordx2 v[26:27], v[20:21] glc
	s_or_b64 s[94:95], s[94:95], exec
	s_or_b64 s[92:93], s[92:93], exec
                                        ; implicit-def: $vgpr10
	s_and_saveexec_b64 s[30:31], vcc
	s_cbranch_execz .LBB2_1153
; %bb.1155:                             ;   in Loop: Header=BB2_1154 Depth=3
	s_cmpk_lt_i32 s75, 0x270f
	s_cselect_b64 s[38:39], -1, 0
	s_cmpk_gt_i32 s75, 0x270e
	s_mov_b64 s[34:35], -1
	s_cbranch_scc0 .LBB2_1157
; %bb.1156:                             ;   in Loop: Header=BB2_1154 Depth=3
	s_trap 2
	ds_read_b64 v[4:5], v0
	s_andn2_b64 s[38:39], s[38:39], exec
	s_mov_b32 s75, 0
	s_mov_b64 s[36:37], 0
	s_waitcnt vmcnt(0) lgkmcnt(0)
	flat_load_dword v10, v[4:5] glc
	s_waitcnt vmcnt(0) lgkmcnt(0)
	buffer_wbinvl1_vol
	v_cmp_eq_u32_e64 s[26:27], 0, v10
	s_and_b64 s[26:27], s[26:27], exec
	s_or_b64 s[38:39], s[38:39], s[26:27]
	s_and_saveexec_b64 s[48:49], s[38:39]
	s_cbranch_execz .LBB2_1152
	s_branch .LBB2_1151
.LBB2_1157:                             ;   in Loop: Header=BB2_1154 Depth=3
	s_add_i32 s75, s75, 1
	s_mov_b64 s[36:37], -1
                                        ; implicit-def: $vgpr10
	s_and_saveexec_b64 s[48:49], s[38:39]
	s_cbranch_execz .LBB2_1152
	s_branch .LBB2_1151
.LBB2_1158:                             ;   in Loop: Header=BB2_1148 Depth=2
	s_or_b64 exec, exec, s[88:89]
	s_xor_b64 s[26:27], s[90:91], -1
	s_and_saveexec_b64 s[88:89], s[26:27]
	s_xor_b64 s[26:27], exec, s[88:89]
	s_cbranch_execz .LBB2_1160
; %bb.1159:                             ;   in Loop: Header=BB2_1148 Depth=2
	v_or_b32_e32 v47, 64, v47
	s_waitcnt lgkmcnt(0)
	ds_write_b32 v0, v10
	s_trap 2
.LBB2_1160:                             ;   in Loop: Header=BB2_1148 Depth=2
	s_or_b64 exec, exec, s[26:27]
.LBB2_1161:                             ;   in Loop: Header=BB2_1148 Depth=2
	s_or_b64 exec, exec, s[78:79]
	v_and_b32_e32 v4, 0x100, v47
	v_cmp_ne_u32_e32 vcc, 0, v4
	v_and_b32_e32 v16, 7, v38
	s_mov_b64 s[26:27], -1
	;;#ASMSTART
	s_wakeup
	;;#ASMEND
                                        ; implicit-def: $vgpr10_vgpr11
	s_and_saveexec_b64 s[78:79], vcc
	s_cbranch_execz .LBB2_1165
; %bb.1162:                             ;   in Loop: Header=BB2_1148 Depth=2
	v_mad_u64_u32 v[38:39], s[26:27], v16, 24, v[34:35]
                                        ; implicit-def: $vgpr10_vgpr11
	flat_load_dword v4, v[38:39]
	s_waitcnt vmcnt(0) lgkmcnt(0)
	v_cmp_ne_u32_e32 vcc, 1, v4
	v_cmp_eq_u32_e64 s[26:27], 1, v4
	s_and_saveexec_b64 s[88:89], s[26:27]
	s_cbranch_execz .LBB2_1164
; %bb.1163:                             ;   in Loop: Header=BB2_1148 Depth=2
	flat_load_dword v10, v[38:39] offset:4 glc
	s_waitcnt vmcnt(0) lgkmcnt(0)
	v_ashrrev_i32_e32 v11, 31, v10
.LBB2_1164:                             ;   in Loop: Header=BB2_1148 Depth=2
	s_or_b64 exec, exec, s[88:89]
	s_orn2_b64 s[26:27], vcc, exec
.LBB2_1165:                             ;   in Loop: Header=BB2_1148 Depth=2
	s_or_b64 exec, exec, s[78:79]
	s_and_saveexec_b64 s[78:79], s[26:27]
; %bb.1166:                             ;   in Loop: Header=BB2_1148 Depth=2
	v_mad_i64_i32 v[10:11], s[26:27], v16, v56, 0
; %bb.1167:                             ;   in Loop: Header=BB2_1148 Depth=2
	s_or_b64 exec, exec, s[78:79]
	v_add_co_u32_e32 v4, vcc, v22, v10
	v_addc_co_u32_e32 v5, vcc, v23, v11, vcc
	ds_write_b64 v0, v[4:5] offset:720
	v_and_b32_e32 v4, 0x2000, v47
	v_cmp_ne_u32_e32 vcc, 0, v4
	s_and_saveexec_b64 s[26:27], vcc
	s_cbranch_execz .LBB2_1169
; %bb.1168:                             ;   in Loop: Header=BB2_1148 Depth=2
	ds_read_b64 v[4:5], v0 offset:872
	s_waitcnt lgkmcnt(0)
	v_add_co_u32_e32 v4, vcc, 1, v4
	v_addc_co_u32_e32 v5, vcc, 0, v5, vcc
	ds_write_b64 v0, v[4:5] offset:872
.LBB2_1169:                             ;   in Loop: Header=BB2_1148 Depth=2
	s_or_b64 exec, exec, s[26:27]
	v_mov_b32_e32 v39, v9
	v_mov_b32_e32 v38, v8
.LBB2_1170:                             ;   in Loop: Header=BB2_1148 Depth=2
	s_or_b64 exec, exec, s[76:77]
	s_xor_b64 s[26:27], s[42:43], -1
	s_and_b64 s[26:27], exec, s[26:27]
	s_or_b64 s[40:41], s[26:27], s[40:41]
	s_and_saveexec_b64 s[26:27], s[10:11]
	s_cbranch_execz .LBB2_1189
; %bb.1171:                             ;   in Loop: Header=BB2_1148 Depth=2
	s_and_saveexec_b64 s[42:43], s[56:57]
	s_xor_b64 s[42:43], exec, s[42:43]
	s_cbranch_execz .LBB2_1186
; %bb.1172:                             ;   in Loop: Header=BB2_1148 Depth=2
	s_and_saveexec_b64 s[76:77], s[16:17]
	s_cbranch_execz .LBB2_1185
; %bb.1173:                             ;   in Loop: Header=BB2_1148 Depth=2
	s_mov_b64 s[88:89], exec
	v_mbcnt_lo_u32_b32 v4, s88, 0
	v_mbcnt_hi_u32_b32 v4, s89, v4
	v_cmp_eq_u32_e32 vcc, 0, v4
	s_waitcnt vmcnt(0) lgkmcnt(0)
	buffer_wbinvl1_vol
	s_and_saveexec_b64 s[78:79], vcc
	s_cbranch_execz .LBB2_1175
; %bb.1174:                             ;   in Loop: Header=BB2_1148 Depth=2
	s_bcnt1_i32_b64 s75, s[88:89]
	v_mov_b32_e32 v4, s75
	v_mov_b32_e32 v5, v2
	ds_add_u64 v0, v[4:5]
	s_trap 2
.LBB2_1175:                             ;   in Loop: Header=BB2_1148 Depth=2
	s_or_b64 exec, exec, s[78:79]
	s_trap 2
	ds_read_b64 v[4:5], v0
	s_waitcnt lgkmcnt(0)
	v_add_co_u32_e32 v12, vcc, v12, v57
	v_addc_co_u32_e32 v13, vcc, 0, v13, vcc
	v_cmp_lt_u64_e32 vcc, v[4:5], v[12:13]
	s_and_saveexec_b64 s[78:79], vcc
	s_cbranch_execz .LBB2_1184
; %bb.1176:                             ;   in Loop: Header=BB2_1148 Depth=2
	s_mov_b32 s75, 0
	s_mov_b64 s[88:89], 0
                                        ; implicit-def: $sgpr90_sgpr91
                                        ; implicit-def: $sgpr92_sgpr93
	s_branch .LBB2_1178
.LBB2_1177:                             ;   in Loop: Header=BB2_1178 Depth=3
	s_or_b64 exec, exec, s[30:31]
	s_and_b64 s[94:95], exec, vcc
	s_or_b64 s[88:89], s[94:95], s[88:89]
	s_andn2_b64 s[90:91], s[90:91], exec
	s_and_b64 s[94:95], s[92:93], exec
	s_or_b64 s[90:91], s[90:91], s[94:95]
	s_andn2_b64 exec, exec, s[88:89]
	s_cbranch_execz .LBB2_1182
.LBB2_1178:                             ;   Parent Loop BB2_47 Depth=1
                                        ;     Parent Loop BB2_1148 Depth=2
                                        ; =>    This Inner Loop Header: Depth=3
	s_add_i32 s75, s75, 1
	s_cmpk_lg_i32 s75, 0x2710
	s_cselect_b64 s[94:95], -1, 0
	s_and_b64 vcc, exec, s[94:95]
	s_cbranch_vccz .LBB2_1180
; %bb.1179:                             ;   in Loop: Header=BB2_1178 Depth=3
	s_mov_b64 vcc, -1
	s_or_b64 s[92:93], s[92:93], exec
	s_and_saveexec_b64 s[30:31], s[94:95]
	s_cbranch_execz .LBB2_1177
	s_branch .LBB2_1181
.LBB2_1180:                             ;   in Loop: Header=BB2_1178 Depth=3
	s_trap 2
	ds_read_b64 v[4:5], v0
	s_andn2_b64 s[94:95], s[94:95], exec
	s_mov_b32 s75, 0
	s_waitcnt lgkmcnt(0)
	flat_load_dword v4, v[4:5] glc
	s_waitcnt vmcnt(0) lgkmcnt(0)
	buffer_wbinvl1_vol
	v_cmp_eq_u32_e32 vcc, 0, v4
	s_and_b64 vcc, vcc, exec
	s_or_b64 s[94:95], s[94:95], vcc
	s_mov_b64 vcc, -1
	s_or_b64 s[92:93], s[92:93], exec
	s_and_saveexec_b64 s[30:31], s[94:95]
	s_cbranch_execz .LBB2_1177
.LBB2_1181:                             ;   in Loop: Header=BB2_1178 Depth=3
	s_sleep 1
	s_trap 2
	ds_read_b64 v[4:5], v0
	s_waitcnt lgkmcnt(0)
	s_andn2_b64 s[92:93], s[92:93], exec
	v_cmp_ge_u64_e32 vcc, v[4:5], v[12:13]
	s_orn2_b64 vcc, vcc, exec
	s_branch .LBB2_1177
.LBB2_1182:                             ;   in Loop: Header=BB2_1148 Depth=2
	s_or_b64 exec, exec, s[88:89]
	s_and_saveexec_b64 s[88:89], s[90:91]
	s_xor_b64 s[88:89], exec, s[88:89]
	s_cbranch_execz .LBB2_1184
; %bb.1183:                             ;   in Loop: Header=BB2_1148 Depth=2
	ds_write_b32 v0, v62
	s_trap 2
.LBB2_1184:                             ;   in Loop: Header=BB2_1148 Depth=2
	s_or_b64 exec, exec, s[78:79]
	;;#ASMSTART
	s_wakeup
	;;#ASMEND
.LBB2_1185:                             ;   in Loop: Header=BB2_1148 Depth=2
	s_or_b64 exec, exec, s[76:77]
.LBB2_1186:                             ;   in Loop: Header=BB2_1148 Depth=2
	s_andn2_saveexec_b64 s[42:43], s[42:43]
	s_cbranch_execz .LBB2_1188
; %bb.1187:                             ;   in Loop: Header=BB2_1148 Depth=2
	s_waitcnt vmcnt(0) lgkmcnt(0)
	buffer_wbinvl1_vol
	s_barrier
.LBB2_1188:                             ;   in Loop: Header=BB2_1148 Depth=2
	s_or_b64 exec, exec, s[42:43]
.LBB2_1189:                             ;   in Loop: Header=BB2_1148 Depth=2
	s_or_b64 exec, exec, s[26:27]
	v_sub_u32_e32 v4, v1, v50
	v_min_i32_e32 v3, v3, v4
	s_and_saveexec_b64 s[26:27], s[24:25]
	s_xor_b64 s[26:27], exec, s[26:27]
	s_cbranch_execz .LBB2_1193
; %bb.1190:                             ;   in Loop: Header=BB2_1148 Depth=2
	s_trap 2
	ds_read_b32 v4, v0
	v_cmp_lt_i32_e32 vcc, 0, v3
	v_and_b32_e32 v5, 16, v47
	s_waitcnt lgkmcnt(0)
	v_readfirstlane_b32 s42, v4
	s_cmp_eq_u32 s42, 0
	s_cselect_b64 s[42:43], -1, 0
	s_and_b64 s[42:43], vcc, s[42:43]
	v_cmp_ne_u32_e32 vcc, 0, v5
	s_and_b64 s[76:77], vcc, s[42:43]
	s_and_saveexec_b64 s[42:43], s[76:77]
	s_cbranch_execz .LBB2_1192
; %bb.1191:                             ;   in Loop: Header=BB2_1148 Depth=2
	s_waitcnt vmcnt(0)
	buffer_wbinvl1_vol
.LBB2_1192:                             ;   in Loop: Header=BB2_1148 Depth=2
	s_or_b64 exec, exec, s[42:43]
.LBB2_1193:                             ;   in Loop: Header=BB2_1148 Depth=2
	s_andn2_saveexec_b64 s[26:27], s[26:27]
	s_cbranch_execz .LBB2_1212
; %bb.1194:                             ;   in Loop: Header=BB2_1148 Depth=2
	s_and_saveexec_b64 s[42:43], s[56:57]
	s_xor_b64 s[42:43], exec, s[42:43]
	s_cbranch_execz .LBB2_1209
; %bb.1195:                             ;   in Loop: Header=BB2_1148 Depth=2
	s_and_saveexec_b64 s[76:77], s[16:17]
	s_cbranch_execz .LBB2_1208
; %bb.1196:                             ;   in Loop: Header=BB2_1148 Depth=2
	s_mov_b64 s[88:89], exec
	v_mbcnt_lo_u32_b32 v4, s88, 0
	v_mbcnt_hi_u32_b32 v4, s89, v4
	v_cmp_eq_u32_e32 vcc, 0, v4
	;;#ASMSTART
	s_waitcnt lgkmcnt(0) vmcnt(0)
	;;#ASMEND
	s_and_saveexec_b64 s[78:79], vcc
	s_cbranch_execz .LBB2_1198
; %bb.1197:                             ;   in Loop: Header=BB2_1148 Depth=2
	s_bcnt1_i32_b64 s75, s[88:89]
	v_mov_b32_e32 v4, s75
	v_mov_b32_e32 v5, v2
	s_waitcnt lgkmcnt(0)
	ds_add_u64 v0, v[4:5]
	s_trap 2
.LBB2_1198:                             ;   in Loop: Header=BB2_1148 Depth=2
	s_or_b64 exec, exec, s[78:79]
	s_trap 2
	ds_read_b64 v[4:5], v0
	s_waitcnt lgkmcnt(0)
	v_add_co_u32_e32 v12, vcc, v12, v57
	v_addc_co_u32_e32 v13, vcc, 0, v13, vcc
	v_cmp_lt_u64_e32 vcc, v[4:5], v[12:13]
	s_and_saveexec_b64 s[78:79], vcc
	s_cbranch_execz .LBB2_1207
; %bb.1199:                             ;   in Loop: Header=BB2_1148 Depth=2
	s_mov_b32 s75, 0
	s_mov_b64 s[88:89], 0
                                        ; implicit-def: $sgpr90_sgpr91
                                        ; implicit-def: $sgpr92_sgpr93
	s_branch .LBB2_1201
.LBB2_1200:                             ;   in Loop: Header=BB2_1201 Depth=3
	s_or_b64 exec, exec, s[30:31]
	s_and_b64 s[94:95], exec, vcc
	s_or_b64 s[88:89], s[94:95], s[88:89]
	s_andn2_b64 s[90:91], s[90:91], exec
	s_and_b64 s[94:95], s[92:93], exec
	s_or_b64 s[90:91], s[90:91], s[94:95]
	s_andn2_b64 exec, exec, s[88:89]
	s_cbranch_execz .LBB2_1205
.LBB2_1201:                             ;   Parent Loop BB2_47 Depth=1
                                        ;     Parent Loop BB2_1148 Depth=2
                                        ; =>    This Inner Loop Header: Depth=3
	s_add_i32 s75, s75, 1
	s_cmpk_lg_i32 s75, 0x2710
	s_cselect_b64 s[94:95], -1, 0
	s_and_b64 vcc, exec, s[94:95]
	s_cbranch_vccz .LBB2_1203
; %bb.1202:                             ;   in Loop: Header=BB2_1201 Depth=3
	s_mov_b64 vcc, -1
	s_or_b64 s[92:93], s[92:93], exec
	s_and_saveexec_b64 s[30:31], s[94:95]
	s_cbranch_execz .LBB2_1200
	s_branch .LBB2_1204
.LBB2_1203:                             ;   in Loop: Header=BB2_1201 Depth=3
	s_trap 2
	ds_read_b64 v[4:5], v0
	s_andn2_b64 s[94:95], s[94:95], exec
	s_mov_b32 s75, 0
	s_waitcnt vmcnt(0) lgkmcnt(0)
	flat_load_dword v4, v[4:5] glc
	s_waitcnt vmcnt(0) lgkmcnt(0)
	buffer_wbinvl1_vol
	v_cmp_eq_u32_e32 vcc, 0, v4
	s_and_b64 vcc, vcc, exec
	s_or_b64 s[94:95], s[94:95], vcc
	s_mov_b64 vcc, -1
	s_or_b64 s[92:93], s[92:93], exec
	s_and_saveexec_b64 s[30:31], s[94:95]
	s_cbranch_execz .LBB2_1200
.LBB2_1204:                             ;   in Loop: Header=BB2_1201 Depth=3
	s_sleep 1
	s_trap 2
	ds_read_b64 v[4:5], v0
	s_waitcnt lgkmcnt(0)
	s_andn2_b64 s[92:93], s[92:93], exec
	v_cmp_ge_u64_e32 vcc, v[4:5], v[12:13]
	s_orn2_b64 vcc, vcc, exec
	s_branch .LBB2_1200
.LBB2_1205:                             ;   in Loop: Header=BB2_1148 Depth=2
	s_or_b64 exec, exec, s[88:89]
	s_and_saveexec_b64 s[88:89], s[90:91]
	s_xor_b64 s[88:89], exec, s[88:89]
	s_cbranch_execz .LBB2_1207
; %bb.1206:                             ;   in Loop: Header=BB2_1148 Depth=2
	ds_write_b32 v0, v62
	s_trap 2
.LBB2_1207:                             ;   in Loop: Header=BB2_1148 Depth=2
	s_or_b64 exec, exec, s[78:79]
	;;#ASMSTART
	s_wakeup
	;;#ASMEND
.LBB2_1208:                             ;   in Loop: Header=BB2_1148 Depth=2
	s_or_b64 exec, exec, s[76:77]
.LBB2_1209:                             ;   in Loop: Header=BB2_1148 Depth=2
	s_andn2_saveexec_b64 s[42:43], s[42:43]
	s_cbranch_execz .LBB2_1211
; %bb.1210:                             ;   in Loop: Header=BB2_1148 Depth=2
	;;#ASMSTART
	s_waitcnt lgkmcnt(0) vmcnt(0)
	;;#ASMEND
	s_waitcnt vmcnt(0) lgkmcnt(0)
	s_barrier
.LBB2_1211:                             ;   in Loop: Header=BB2_1148 Depth=2
	s_or_b64 exec, exec, s[42:43]
.LBB2_1212:                             ;   in Loop: Header=BB2_1148 Depth=2
	s_or_b64 exec, exec, s[26:27]
	v_and_b32_e32 v4, 32, v47
	v_cmp_ne_u32_e32 vcc, 0, v4
	s_and_saveexec_b64 s[26:27], vcc
	s_cbranch_execz .LBB2_1147
; %bb.1213:                             ;   in Loop: Header=BB2_1148 Depth=2
	v_add_co_u32_e32 v38, vcc, 2, v38
	v_addc_co_u32_e32 v39, vcc, 0, v39, vcc
	flat_store_dwordx2 v[20:21], v[38:39]
	s_branch .LBB2_1147
.LBB2_1214:
	s_or_b64 exec, exec, s[58:59]
	buffer_load_dword v16, off, s[0:3], s33 offset:224 ; 4-byte Folded Reload
	buffer_load_dword v31, off, s[0:3], s33 offset:228 ; 4-byte Folded Reload
	;; [unrolled: 1-line block ×5, first 2 shown]
.LBB2_1215:
	s_or_b64 exec, exec, s[46:47]
	v_and_b32_e32 v0, 0x800, v47
	v_cmp_eq_u32_e32 vcc, 0, v0
	s_and_saveexec_b64 s[6:7], vcc
	s_cbranch_execz .LBB2_1248
; %bb.1216:
	v_and_b32_e32 v0, 48, v47
	v_cmp_ne_u32_e32 vcc, 0, v0
	s_and_saveexec_b64 s[4:5], vcc
	s_cbranch_execz .LBB2_1218
; %bb.1217:
	s_waitcnt vmcnt(0)
	flat_store_dwordx2 v[14:15], v[38:39] offset:104
.LBB2_1218:
	s_or_b64 exec, exec, s[4:5]
	s_movk_i32 s4, 0x88
	v_and_b32_e32 v0, 0x88, v47
	v_cmp_eq_u32_e32 vcc, s4, v0
	s_and_saveexec_b64 s[10:11], vcc
	s_cbranch_execz .LBB2_1228
; %bb.1219:
	v_add_u32_e32 v0, 6, v38
	v_and_b32_e32 v0, 7, v0
	v_mad_u64_u32 v[2:3], s[4:5], v0, 24, v[34:35]
	v_and_b32_e32 v4, 64, v47
	v_cmp_eq_u32_e64 s[4:5], 0, v4
	flat_load_dwordx2 v[0:1], v[2:3] offset:8 glc
	s_waitcnt vmcnt(0)
	s_mov_b32 s22, 0
	s_waitcnt lgkmcnt(0)
	v_cmp_ne_u64_e32 vcc, -1, v[0:1]
	s_and_b64 s[4:5], vcc, s[4:5]
	s_and_b64 exec, exec, s[4:5]
	s_cbranch_execz .LBB2_1228
; %bb.1220:
	s_mov_b64 s[4:5], 0
                                        ; implicit-def: $sgpr12_sgpr13
                                        ; implicit-def: $sgpr14_sgpr15
	s_branch .LBB2_1223
.LBB2_1221:                             ;   in Loop: Header=BB2_1223 Depth=1
	flat_load_dwordx2 v[4:5], v[2:3] offset:8 glc
	s_waitcnt vmcnt(0)
	s_andn2_b64 s[14:15], s[14:15], exec
	s_waitcnt lgkmcnt(0)
	v_cmp_eq_u64_e32 vcc, -1, v[4:5]
	s_orn2_b64 s[18:19], vcc, exec
.LBB2_1222:                             ;   in Loop: Header=BB2_1223 Depth=1
	s_or_b64 exec, exec, s[20:21]
	s_and_b64 s[16:17], exec, s[18:19]
	s_or_b64 s[4:5], s[16:17], s[4:5]
	s_andn2_b64 s[12:13], s[12:13], exec
	s_and_b64 s[16:17], s[14:15], exec
	s_or_b64 s[12:13], s[12:13], s[16:17]
	s_andn2_b64 exec, exec, s[4:5]
	s_cbranch_execz .LBB2_1226
.LBB2_1223:                             ; =>This Inner Loop Header: Depth=1
	s_cmpk_lt_i32 s22, 0x270f
	s_cselect_b64 s[16:17], -1, 0
	s_and_b64 vcc, exec, s[16:17]
	s_cbranch_vccnz .LBB2_1225
; %bb.1224:                             ;   in Loop: Header=BB2_1223 Depth=1
	s_trap 2
	ds_read_b64 v[0:1], v0
	s_andn2_b64 s[16:17], s[16:17], exec
	s_mov_b32 s22, 0
	s_waitcnt lgkmcnt(0)
	flat_load_dword v0, v[0:1] glc
	s_waitcnt vmcnt(0) lgkmcnt(0)
	buffer_wbinvl1_vol
	v_cmp_eq_u32_e32 vcc, 0, v0
	s_and_b64 s[18:19], vcc, exec
	s_or_b64 s[16:17], s[16:17], s[18:19]
	s_mov_b64 s[18:19], -1
	s_or_b64 s[14:15], s[14:15], exec
	s_and_saveexec_b64 s[20:21], s[16:17]
	s_cbranch_execz .LBB2_1222
	s_branch .LBB2_1221
.LBB2_1225:                             ;   in Loop: Header=BB2_1223 Depth=1
	s_add_i32 s22, s22, 1
                                        ; implicit-def: $vgpr0
	s_mov_b64 s[18:19], -1
	s_or_b64 s[14:15], s[14:15], exec
	s_and_saveexec_b64 s[20:21], s[16:17]
	s_cbranch_execz .LBB2_1222
	s_branch .LBB2_1221
.LBB2_1226:
	s_or_b64 exec, exec, s[4:5]
	s_and_saveexec_b64 s[4:5], s[12:13]
	s_xor_b64 s[4:5], exec, s[4:5]
	s_cbranch_execz .LBB2_1228
; %bb.1227:
	ds_write_b32 v0, v0
	s_trap 2
.LBB2_1228:
	s_or_b64 exec, exec, s[10:11]
	v_and_b32_e32 v0, 0x2000, v47
	v_cmp_ne_u32_e32 vcc, 0, v0
	s_and_saveexec_b64 s[4:5], vcc
	s_cbranch_execz .LBB2_1230
; %bb.1229:
	s_trap 2
	ds_read_b64 v[0:1], v0
	buffer_load_dword v2, off, s[0:3], s33 offset:244 ; 4-byte Folded Reload
	buffer_load_dword v3, off, s[0:3], s33 offset:248 ; 4-byte Folded Reload
	s_waitcnt vmcnt(0) lgkmcnt(0)
	flat_store_dwordx2 v[2:3], v[0:1] offset:16
.LBB2_1230:
	s_or_b64 exec, exec, s[4:5]
	s_waitcnt vmcnt(0)
	v_cmp_ne_u32_e32 vcc, 64, v16
	s_and_b64 exec, exec, vcc
	s_cbranch_execz .LBB2_1248
; %bb.1231:
	v_cmp_ne_u32_sdwa s[4:5], v16, v17 src0_sel:DWORD src1_sel:WORD_0
	s_and_saveexec_b64 s[10:11], s[4:5]
	s_xor_b64 s[4:5], exec, s[10:11]
	s_cbranch_execz .LBB2_1246
; %bb.1232:
	v_and_b32_e32 v0, 63, v31
	v_cmp_eq_u32_e32 vcc, 0, v0
	s_and_saveexec_b64 s[10:11], vcc
	s_cbranch_execz .LBB2_1245
; %bb.1233:
	s_mov_b64 s[14:15], exec
	v_mbcnt_lo_u32_b32 v0, s14, 0
	v_mbcnt_hi_u32_b32 v0, s15, v0
	v_cmp_eq_u32_e32 vcc, 0, v0
	s_waitcnt lgkmcnt(0)
	buffer_wbinvl1_vol
	s_and_saveexec_b64 s[12:13], vcc
	s_cbranch_execz .LBB2_1235
; %bb.1234:
	s_bcnt1_i32_b64 s14, s[14:15]
	v_mov_b32_e32 v0, s14
	v_mov_b32_e32 v1, 0
	ds_add_u64 v0, v[0:1]
	s_trap 2
.LBB2_1235:
	s_or_b64 exec, exec, s[12:13]
	v_lshrrev_b32_e32 v0, 6, v16
	s_trap 2
	ds_read_b64 v[2:3], v0
	s_waitcnt lgkmcnt(0)
	v_add_co_u32_e32 v0, vcc, v12, v0
	v_addc_co_u32_e32 v1, vcc, 0, v13, vcc
	v_cmp_lt_u64_e32 vcc, v[2:3], v[0:1]
	s_and_saveexec_b64 s[12:13], vcc
	s_cbranch_execz .LBB2_1244
; %bb.1236:
	s_mov_b32 s26, 0
	s_mov_b64 s[14:15], 0
                                        ; implicit-def: $sgpr16_sgpr17
                                        ; implicit-def: $sgpr18_sgpr19
	s_branch .LBB2_1238
.LBB2_1237:                             ;   in Loop: Header=BB2_1238 Depth=1
	s_or_b64 exec, exec, s[22:23]
	s_and_b64 s[20:21], exec, s[24:25]
	s_or_b64 s[14:15], s[20:21], s[14:15]
	s_andn2_b64 s[16:17], s[16:17], exec
	s_and_b64 s[20:21], s[18:19], exec
	s_or_b64 s[16:17], s[16:17], s[20:21]
	s_andn2_b64 exec, exec, s[14:15]
	s_cbranch_execz .LBB2_1242
.LBB2_1238:                             ; =>This Inner Loop Header: Depth=1
	s_add_i32 s26, s26, 1
	s_cmpk_lg_i32 s26, 0x2710
	s_cselect_b64 s[20:21], -1, 0
	s_and_b64 vcc, exec, s[20:21]
	s_cbranch_vccz .LBB2_1240
; %bb.1239:                             ;   in Loop: Header=BB2_1238 Depth=1
	s_mov_b64 s[24:25], -1
	s_or_b64 s[18:19], s[18:19], exec
	s_and_saveexec_b64 s[22:23], s[20:21]
	s_cbranch_execz .LBB2_1237
	s_branch .LBB2_1241
.LBB2_1240:                             ;   in Loop: Header=BB2_1238 Depth=1
	s_trap 2
	ds_read_b64 v[2:3], v0
	s_andn2_b64 s[20:21], s[20:21], exec
	s_mov_b32 s26, 0
	s_waitcnt lgkmcnt(0)
	flat_load_dword v2, v[2:3] glc
	s_waitcnt vmcnt(0) lgkmcnt(0)
	buffer_wbinvl1_vol
	v_cmp_eq_u32_e32 vcc, 0, v2
	s_and_b64 s[22:23], vcc, exec
	s_or_b64 s[20:21], s[20:21], s[22:23]
	s_mov_b64 s[24:25], -1
	s_or_b64 s[18:19], s[18:19], exec
	s_and_saveexec_b64 s[22:23], s[20:21]
	s_cbranch_execz .LBB2_1237
.LBB2_1241:                             ;   in Loop: Header=BB2_1238 Depth=1
	s_sleep 1
	s_trap 2
	ds_read_b64 v[2:3], v0
	s_waitcnt lgkmcnt(0)
	s_andn2_b64 s[18:19], s[18:19], exec
	v_cmp_ge_u64_e32 vcc, v[2:3], v[0:1]
	s_orn2_b64 s[24:25], vcc, exec
	s_branch .LBB2_1237
.LBB2_1242:
	s_or_b64 exec, exec, s[14:15]
	s_and_saveexec_b64 s[14:15], s[16:17]
	s_xor_b64 s[14:15], exec, s[14:15]
	s_cbranch_execz .LBB2_1244
; %bb.1243:
	v_mov_b32_e32 v0, 1
	ds_write_b32 v0, v0
	s_trap 2
.LBB2_1244:
	s_or_b64 exec, exec, s[12:13]
	;;#ASMSTART
	s_wakeup
	;;#ASMEND
.LBB2_1245:
	s_or_b64 exec, exec, s[10:11]
.LBB2_1246:
	s_andn2_saveexec_b64 s[4:5], s[4:5]
	s_cbranch_execz .LBB2_1248
; %bb.1247:
	s_waitcnt lgkmcnt(0)
	buffer_wbinvl1_vol
	s_barrier
.LBB2_1248:
	s_or_b64 exec, exec, s[6:7]
.LBB2_1249:
	s_andn2_saveexec_b64 s[26:27], s[44:45]
	s_cbranch_execz .LBB2_1251
; %bb.1250:
	s_getpc_b64 s[4:5]
	s_add_u32 s4, s4, __PRETTY_FUNCTION__._ZN10PrimitivesIh14FuncSumPostDivIhE12FanSymmetricILi1EELi0E11ProtoSimpleILi2ELi2ELi0ELi1ELi0ELi0EELi0ELb0ELi0ELi0ELi0EEC2EiiPKiS8_PKvPvmhhhP15ncclDevWorkCollP14ncclDevWorkP2pii@rel32@lo+4
	s_addc_u32 s5, s5, __PRETTY_FUNCTION__._ZN10PrimitivesIh14FuncSumPostDivIhE12FanSymmetricILi1EELi0E11ProtoSimpleILi2ELi2ELi0ELi1ELi0ELi0EELi0ELb0ELi0ELi0ELi0EEC2EiiPKiS8_PKvPvmhhhP15ncclDevWorkCollP14ncclDevWorkP2pii@rel32@hi+12
	s_getpc_b64 s[6:7]
	s_add_u32 s6, s6, __assert_fail@rel32@lo+4
	s_addc_u32 s7, s7, __assert_fail@rel32@hi+12
	v_mov_b32_e32 v0, s4
	v_mov_b32_e32 v1, s5
	s_swappc_b64 s[30:31], s[6:7]
	; divergent unreachable
.LBB2_1251:
	s_or_b64 exec, exec, s[26:27]
	buffer_load_dword v62, off, s[0:3], s33 ; 4-byte Folded Reload
	buffer_load_dword v61, off, s[0:3], s33 offset:4 ; 4-byte Folded Reload
	buffer_load_dword v60, off, s[0:3], s33 offset:8 ; 4-byte Folded Reload
	;; [unrolled: 1-line block ×5, first 2 shown]
	s_waitcnt lgkmcnt(0)
	buffer_load_dword v56, off, s[0:3], s33 offset:24 ; 4-byte Folded Reload
	buffer_load_dword v47, off, s[0:3], s33 offset:28 ; 4-byte Folded Reload
	;; [unrolled: 1-line block ×9, first 2 shown]
	v_readlane_b32 s30, v63, 33
	v_readlane_b32 s31, v63, 34
	;; [unrolled: 1-line block ×35, first 2 shown]
	s_mov_b32 s32, s33
	v_readlane_b32 s4, v63, 35
	s_or_saveexec_b64 s[6:7], -1
	buffer_load_dword v63, off, s[0:3], s33 offset:252 ; 4-byte Folded Reload
	s_mov_b64 exec, s[6:7]
	s_mov_b32 s33, s4
	s_waitcnt vmcnt(0)
	s_setpc_b64 s[30:31]
.Lfunc_end2:
	.size	_ZN12_GLOBAL__N_17runRingIh14FuncSumPostDivIhE11ProtoSimpleILi2ELi2ELi0ELi1ELi0ELi0EELi0ELi0ELi1ELi0EEEviiP15ncclDevWorkColl, .Lfunc_end2-_ZN12_GLOBAL__N_17runRingIh14FuncSumPostDivIhE11ProtoSimpleILi2ELi2ELi0ELi1ELi0ELi0EELi0ELi0ELi1ELi0EEEviiP15ncclDevWorkColl
                                        ; -- End function
	.set .L_ZN12_GLOBAL__N_17runRingIh14FuncSumPostDivIhE11ProtoSimpleILi2ELi2ELi0ELi1ELi0ELi0EELi0ELi0ELi1ELi0EEEviiP15ncclDevWorkColl.num_vgpr, max(64, .L__assert_fail.num_vgpr)
	.set .L_ZN12_GLOBAL__N_17runRingIh14FuncSumPostDivIhE11ProtoSimpleILi2ELi2ELi0ELi1ELi0ELi0EELi0ELi0ELi1ELi0EEEviiP15ncclDevWorkColl.num_agpr, max(0, .L__assert_fail.num_agpr)
	.set .L_ZN12_GLOBAL__N_17runRingIh14FuncSumPostDivIhE11ProtoSimpleILi2ELi2ELi0ELi1ELi0ELi0EELi0ELi0ELi1ELi0EEEviiP15ncclDevWorkColl.numbered_sgpr, max(99, .L__assert_fail.numbered_sgpr)
	.set .L_ZN12_GLOBAL__N_17runRingIh14FuncSumPostDivIhE11ProtoSimpleILi2ELi2ELi0ELi1ELi0ELi0EELi0ELi0ELi1ELi0EEEviiP15ncclDevWorkColl.num_named_barrier, max(0, .L__assert_fail.num_named_barrier)
	.set .L_ZN12_GLOBAL__N_17runRingIh14FuncSumPostDivIhE11ProtoSimpleILi2ELi2ELi0ELi1ELi0ELi0EELi0ELi0ELi1ELi0EEEviiP15ncclDevWorkColl.private_seg_size, 272+max(.L__assert_fail.private_seg_size)
	.set .L_ZN12_GLOBAL__N_17runRingIh14FuncSumPostDivIhE11ProtoSimpleILi2ELi2ELi0ELi1ELi0ELi0EELi0ELi0ELi1ELi0EEEviiP15ncclDevWorkColl.uses_vcc, or(1, .L__assert_fail.uses_vcc)
	.set .L_ZN12_GLOBAL__N_17runRingIh14FuncSumPostDivIhE11ProtoSimpleILi2ELi2ELi0ELi1ELi0ELi0EELi0ELi0ELi1ELi0EEEviiP15ncclDevWorkColl.uses_flat_scratch, or(0, .L__assert_fail.uses_flat_scratch)
	.set .L_ZN12_GLOBAL__N_17runRingIh14FuncSumPostDivIhE11ProtoSimpleILi2ELi2ELi0ELi1ELi0ELi0EELi0ELi0ELi1ELi0EEEviiP15ncclDevWorkColl.has_dyn_sized_stack, or(0, .L__assert_fail.has_dyn_sized_stack)
	.set .L_ZN12_GLOBAL__N_17runRingIh14FuncSumPostDivIhE11ProtoSimpleILi2ELi2ELi0ELi1ELi0ELi0EELi0ELi0ELi1ELi0EEEviiP15ncclDevWorkColl.has_recursion, or(1, .L__assert_fail.has_recursion)
	.set .L_ZN12_GLOBAL__N_17runRingIh14FuncSumPostDivIhE11ProtoSimpleILi2ELi2ELi0ELi1ELi0ELi0EELi0ELi0ELi1ELi0EEEviiP15ncclDevWorkColl.has_indirect_call, or(0, .L__assert_fail.has_indirect_call)
	.section	.AMDGPU.csdata,"",@progbits
; Function info:
; codeLenInByte = 48324
; TotalNumSgprs: 103
; NumVgprs: 64
; ScratchSize: 336
; MemoryBound: 1
	.text
	.p2align	2                               ; -- Begin function _Z53ncclDevFunc_AllReduce_RING_SIMPLE_SumPostDiv_u8_0_0_1v
	.type	_Z53ncclDevFunc_AllReduce_RING_SIMPLE_SumPostDiv_u8_0_0_1v,@function
_Z53ncclDevFunc_AllReduce_RING_SIMPLE_SumPostDiv_u8_0_0_1v: ; @_Z53ncclDevFunc_AllReduce_RING_SIMPLE_SumPostDiv_u8_0_0_1v
; %bb.0:
	s_waitcnt vmcnt(0) expcnt(0) lgkmcnt(0)
	s_mov_b32 s4, s33
	s_mov_b32 s33, s32
	s_or_saveexec_b64 s[6:7], -1
	buffer_store_dword v43, off, s[0:3], s33 offset:16 ; 4-byte Folded Spill
	buffer_store_dword v44, off, s[0:3], s33 offset:20 ; 4-byte Folded Spill
	s_mov_b64 exec, s[6:7]
	v_writelane_b32 v44, s4, 38
	v_writelane_b32 v44, s100, 36
	;; [unrolled: 1-line block ×3, first 2 shown]
	s_addk_i32 s32, 0x800
	buffer_store_dword v40, off, s[0:3], s33 offset:8 ; 4-byte Folded Spill
	buffer_store_dword v41, off, s[0:3], s33 offset:4 ; 4-byte Folded Spill
	buffer_store_dword v42, off, s[0:3], s33 ; 4-byte Folded Spill
	v_writelane_b32 v44, s34, 0
	v_writelane_b32 v44, s35, 1
	;; [unrolled: 1-line block ×36, first 2 shown]
	s_trap 2
	ds_read_b32 v0, v0
	v_mov_b32_e32 v40, v31
                                        ; implicit-def: $vgpr43 : SGPR spill to VGPR lane
	v_and_b32_e32 v41, 0x3ff, v40
	v_writelane_b32 v43, s12, 0
	v_writelane_b32 v43, s8, 1
	s_waitcnt lgkmcnt(0)
	v_cmp_lt_i32_e32 vcc, v41, v0
	v_writelane_b32 v43, s9, 2
	s_and_saveexec_b64 s[4:5], vcc
	s_cbranch_execz .LBB3_5
; %bb.1:
	v_readlane_b32 s8, v43, 1
	v_readlane_b32 s9, v43, 2
	s_load_dword s6, s[8:9], 0x0
	v_readlane_b32 s7, v43, 0
	v_mov_b32_e32 v1, 0
	v_mov_b32_e32 v4, v41
                                        ; implicit-def: $vgpr3
	s_waitcnt lgkmcnt(0)
	s_cmp_lt_u32 s7, s6
	s_cselect_b32 s6, 12, 18
	s_add_u32 s6, s8, s6
	s_addc_u32 s7, s9, 0
	global_load_ushort v1, v1, s[6:7]
	s_trap 2
	ds_read_b32 v2, v0
	s_mov_b64 s[6:7], 0
	s_waitcnt vmcnt(0) lgkmcnt(0)
	v_mul_lo_u32 v2, v2, v1
	s_branch .LBB3_3
.LBB3_2:                                ;   in Loop: Header=BB3_3 Depth=1
	s_or_b64 exec, exec, s[8:9]
	v_add_u32_e32 v4, v4, v1
	v_cmp_ge_i32_e32 vcc, v4, v0
	s_or_b64 s[6:7], vcc, s[6:7]
	v_add_u32_e32 v3, v3, v2
	s_andn2_b64 exec, exec, s[6:7]
	s_cbranch_execz .LBB3_5
.LBB3_3:                                ; =>This Inner Loop Header: Depth=1
	ds_read_b32 v5, v3
	s_waitcnt lgkmcnt(0)
	v_and_b32_e32 v5, 0x1000000, v5
	v_cmp_ne_u32_e32 vcc, 0, v5
	s_and_saveexec_b64 s[8:9], vcc
	s_cbranch_execz .LBB3_2
; %bb.4:                                ;   in Loop: Header=BB3_3 Depth=1
	ds_read_b64 v[5:6], v3 offset:104
	s_waitcnt lgkmcnt(0)
	flat_load_dwordx2 v[5:6], v[5:6]
	s_waitcnt vmcnt(0) lgkmcnt(0)
	ds_write_b64 v3, v[5:6] offset:104
	s_branch .LBB3_2
.LBB3_5:
	s_or_b64 exec, exec, s[4:5]
	s_waitcnt vmcnt(0) lgkmcnt(0)
	s_barrier
	s_trap 2
	ds_read_b32 v0, v0
	s_waitcnt lgkmcnt(0)
	v_cmp_gt_i32_e32 vcc, 1, v0
	s_cbranch_vccnz .LBB3_13
; %bb.6:
	s_mov_b32 s99, 0
	v_mov_b32_e32 v42, 6
	s_branch .LBB3_8
.LBB3_7:                                ;   in Loop: Header=BB3_8 Depth=1
	s_or_b64 exec, exec, s[6:7]
	s_trap 2
	ds_read_b32 v0, v0
	s_add_i32 s99, s99, 1
	s_waitcnt lgkmcnt(0)
	v_cmp_lt_i32_e32 vcc, s99, v0
	s_cbranch_vccz .LBB3_13
.LBB3_8:                                ; =>This Inner Loop Header: Depth=1
	s_trap 2
	ds_read_b32 v0, v0
	s_cmp_eq_u32 s99, 0
	s_cbranch_scc1 .LBB3_11
; %bb.9:                                ;   in Loop: Header=BB3_8 Depth=1
	s_trap 2
	s_waitcnt lgkmcnt(0)
	ds_read_b32 v1, v0
	s_waitcnt lgkmcnt(0)
	v_xor_b32_e32 v1, v1, v0
	v_and_b32_e32 v1, 0xff0000, v1
	v_cmp_eq_u32_e32 vcc, 0, v1
	s_cbranch_vccnz .LBB3_11
; %bb.10:                               ;   in Loop: Header=BB3_8 Depth=1
	s_barrier
	ds_read_b32 v0, v0
.LBB3_11:                               ;   in Loop: Header=BB3_8 Depth=1
	s_waitcnt lgkmcnt(0)
	v_lshlrev_b32_sdwa v1, v42, v0 dst_sel:DWORD dst_unused:UNUSED_PAD src0_sel:DWORD src1_sel:BYTE_2
	v_cmp_lt_u32_e32 vcc, v41, v1
	s_and_saveexec_b64 s[6:7], vcc
	s_cbranch_execz .LBB3_7
; %bb.12:                               ;   in Loop: Header=BB3_8 Depth=1
	v_writelane_b32 v43, s6, 3
	s_mov_b64 s[4:5], src_shared_base
	v_writelane_b32 v43, s7, 4
	s_or_saveexec_b64 s[100:101], -1
	buffer_store_dword v43, off, s[0:3], s33 offset:12 ; 4-byte Folded Spill
	s_mov_b64 exec, s[100:101]
	v_readlane_b32 s8, v43, 1
	s_getpc_b64 s[6:7]
	s_add_u32 s6, s6, _ZN12_GLOBAL__N_17runRingIh14FuncSumPostDivIhE11ProtoSimpleILi2ELi2ELi0ELi1ELi0ELi0EELi0ELi0ELi1ELi0EEEviiP15ncclDevWorkColl@rel32@lo+4
	s_addc_u32 s7, s7, _ZN12_GLOBAL__N_17runRingIh14FuncSumPostDivIhE11ProtoSimpleILi2ELi2ELi0ELi1ELi0ELi0EELi0ELi0ELi1ELi0EEEviiP15ncclDevWorkColl@rel32@hi+12
	v_readlane_b32 s9, v43, 2
	v_readlane_b32 s12, v43, 0
	v_mov_b32_e32 v31, v40
	v_mov_b32_e32 v0, v41
	;; [unrolled: 1-line block ×3, first 2 shown]
	s_swappc_b64 s[30:31], s[6:7]
	s_or_saveexec_b64 s[100:101], -1
	buffer_load_dword v43, off, s[0:3], s33 offset:12 ; 4-byte Folded Reload
	s_mov_b64 exec, s[100:101]
	s_waitcnt vmcnt(0)
	v_readlane_b32 s6, v43, 3
	v_readlane_b32 s7, v43, 4
	s_branch .LBB3_7
.LBB3_13:
	buffer_load_dword v42, off, s[0:3], s33 ; 4-byte Folded Reload
	buffer_load_dword v41, off, s[0:3], s33 offset:4 ; 4-byte Folded Reload
	buffer_load_dword v40, off, s[0:3], s33 offset:8 ; 4-byte Folded Reload
	v_readlane_b32 s30, v44, 34
	v_readlane_b32 s31, v44, 35
	;; [unrolled: 1-line block ×36, first 2 shown]
	s_mov_b32 s32, s33
	v_readlane_b32 s4, v44, 38
	v_readlane_b32 s100, v44, 36
	;; [unrolled: 1-line block ×3, first 2 shown]
	s_or_saveexec_b64 s[6:7], -1
	buffer_load_dword v43, off, s[0:3], s33 offset:16 ; 4-byte Folded Reload
	buffer_load_dword v44, off, s[0:3], s33 offset:20 ; 4-byte Folded Reload
	s_mov_b64 exec, s[6:7]
	s_mov_b32 s33, s4
	s_waitcnt vmcnt(0)
	s_setpc_b64 s[30:31]
.Lfunc_end3:
	.size	_Z53ncclDevFunc_AllReduce_RING_SIMPLE_SumPostDiv_u8_0_0_1v, .Lfunc_end3-_Z53ncclDevFunc_AllReduce_RING_SIMPLE_SumPostDiv_u8_0_0_1v
                                        ; -- End function
	.set .L_Z53ncclDevFunc_AllReduce_RING_SIMPLE_SumPostDiv_u8_0_0_1v.num_vgpr, max(45, .L_ZN12_GLOBAL__N_17runRingIh14FuncSumPostDivIhE11ProtoSimpleILi2ELi2ELi0ELi1ELi0ELi0EELi0ELi0ELi1ELi0EEEviiP15ncclDevWorkColl.num_vgpr)
	.set .L_Z53ncclDevFunc_AllReduce_RING_SIMPLE_SumPostDiv_u8_0_0_1v.num_agpr, max(0, .L_ZN12_GLOBAL__N_17runRingIh14FuncSumPostDivIhE11ProtoSimpleILi2ELi2ELi0ELi1ELi0ELi0EELi0ELi0ELi1ELi0EEEviiP15ncclDevWorkColl.num_agpr)
	.set .L_Z53ncclDevFunc_AllReduce_RING_SIMPLE_SumPostDiv_u8_0_0_1v.numbered_sgpr, max(102, .L_ZN12_GLOBAL__N_17runRingIh14FuncSumPostDivIhE11ProtoSimpleILi2ELi2ELi0ELi1ELi0ELi0EELi0ELi0ELi1ELi0EEEviiP15ncclDevWorkColl.numbered_sgpr)
	.set .L_Z53ncclDevFunc_AllReduce_RING_SIMPLE_SumPostDiv_u8_0_0_1v.num_named_barrier, max(0, .L_ZN12_GLOBAL__N_17runRingIh14FuncSumPostDivIhE11ProtoSimpleILi2ELi2ELi0ELi1ELi0ELi0EELi0ELi0ELi1ELi0EEEviiP15ncclDevWorkColl.num_named_barrier)
	.set .L_Z53ncclDevFunc_AllReduce_RING_SIMPLE_SumPostDiv_u8_0_0_1v.private_seg_size, 32+max(.L_ZN12_GLOBAL__N_17runRingIh14FuncSumPostDivIhE11ProtoSimpleILi2ELi2ELi0ELi1ELi0ELi0EELi0ELi0ELi1ELi0EEEviiP15ncclDevWorkColl.private_seg_size)
	.set .L_Z53ncclDevFunc_AllReduce_RING_SIMPLE_SumPostDiv_u8_0_0_1v.uses_vcc, or(1, .L_ZN12_GLOBAL__N_17runRingIh14FuncSumPostDivIhE11ProtoSimpleILi2ELi2ELi0ELi1ELi0ELi0EELi0ELi0ELi1ELi0EEEviiP15ncclDevWorkColl.uses_vcc)
	.set .L_Z53ncclDevFunc_AllReduce_RING_SIMPLE_SumPostDiv_u8_0_0_1v.uses_flat_scratch, or(0, .L_ZN12_GLOBAL__N_17runRingIh14FuncSumPostDivIhE11ProtoSimpleILi2ELi2ELi0ELi1ELi0ELi0EELi0ELi0ELi1ELi0EEEviiP15ncclDevWorkColl.uses_flat_scratch)
	.set .L_Z53ncclDevFunc_AllReduce_RING_SIMPLE_SumPostDiv_u8_0_0_1v.has_dyn_sized_stack, or(0, .L_ZN12_GLOBAL__N_17runRingIh14FuncSumPostDivIhE11ProtoSimpleILi2ELi2ELi0ELi1ELi0ELi0EELi0ELi0ELi1ELi0EEEviiP15ncclDevWorkColl.has_dyn_sized_stack)
	.set .L_Z53ncclDevFunc_AllReduce_RING_SIMPLE_SumPostDiv_u8_0_0_1v.has_recursion, or(1, .L_ZN12_GLOBAL__N_17runRingIh14FuncSumPostDivIhE11ProtoSimpleILi2ELi2ELi0ELi1ELi0ELi0EELi0ELi0ELi1ELi0EEEviiP15ncclDevWorkColl.has_recursion)
	.set .L_Z53ncclDevFunc_AllReduce_RING_SIMPLE_SumPostDiv_u8_0_0_1v.has_indirect_call, or(0, .L_ZN12_GLOBAL__N_17runRingIh14FuncSumPostDivIhE11ProtoSimpleILi2ELi2ELi0ELi1ELi0ELi0EELi0ELi0ELi1ELi0EEEviiP15ncclDevWorkColl.has_indirect_call)
	.section	.AMDGPU.csdata,"",@progbits
; Function info:
; codeLenInByte = 1324
; TotalNumSgprs: 106
; NumVgprs: 64
; ScratchSize: 368
; MemoryBound: 0
	.text
	.p2align	2                               ; -- Begin function _ZN12_GLOBAL__N_17runRingIh14FuncSumPostDivIhE11ProtoSimpleILi2ELi2ELi0ELi2ELi0ELi0EELi0ELi0ELi2ELi0EEEviiP15ncclDevWorkColl
	.type	_ZN12_GLOBAL__N_17runRingIh14FuncSumPostDivIhE11ProtoSimpleILi2ELi2ELi0ELi2ELi0ELi0EELi0ELi0ELi2ELi0EEEviiP15ncclDevWorkColl,@function
_ZN12_GLOBAL__N_17runRingIh14FuncSumPostDivIhE11ProtoSimpleILi2ELi2ELi0ELi2ELi0ELi0EELi0ELi0ELi2ELi0EEEviiP15ncclDevWorkColl: ; @_ZN12_GLOBAL__N_17runRingIh14FuncSumPostDivIhE11ProtoSimpleILi2ELi2ELi0ELi2ELi0ELi0EELi0ELi0ELi2ELi0EEEviiP15ncclDevWorkColl
; %bb.0:
	s_waitcnt vmcnt(0) expcnt(0) lgkmcnt(0)
	s_mov_b32 s4, s33
	s_mov_b32 s33, s32
	s_or_saveexec_b64 s[6:7], -1
	buffer_store_dword v63, off, s[0:3], s33 offset:304 ; 4-byte Folded Spill
	buffer_store_dword v62, off, s[0:3], s33 offset:308 ; 4-byte Folded Spill
	s_mov_b64 exec, s[6:7]
	v_writelane_b32 v63, s4, 36
	s_addk_i32 s32, 0x5000
	buffer_store_dword v40, off, s[0:3], s33 offset:52 ; 4-byte Folded Spill
	buffer_store_dword v41, off, s[0:3], s33 offset:48 ; 4-byte Folded Spill
	;; [unrolled: 1-line block ×13, first 2 shown]
	buffer_store_dword v61, off, s[0:3], s33 ; 4-byte Folded Spill
	v_writelane_b32 v63, s34, 0
	v_writelane_b32 v63, s35, 1
	;; [unrolled: 1-line block ×36, first 2 shown]
	buffer_store_dword v31, off, s[0:3], s33 offset:288 ; 4-byte Folded Spill
	buffer_store_dword v1, off, s[0:3], s33 offset:276 ; 4-byte Folded Spill
	s_trap 2
	flat_load_dword v1, v[2:3]
	ds_read_b32 v4, v0
	v_mov_b32_e32 v60, v0
	s_mov_b64 s[28:29], s[8:9]
                                        ; implicit-def: $vgpr14_vgpr15
                                        ; implicit-def: $vgpr5_vgpr6
                                        ; kill: killed $vgpr5_vgpr6
                                        ; implicit-def: $vgpr8_vgpr9
	s_waitcnt lgkmcnt(0)
	v_readfirstlane_b32 s52, v4
	s_waitcnt vmcnt(0)
	v_cmp_ne_u32_sdwa s[4:5], v4, v1 src0_sel:DWORD src1_sel:BYTE_0
	s_and_saveexec_b64 s[6:7], s[4:5]
	s_xor_b64 s[4:5], exec, s[6:7]
	s_cbranch_execz .LBB4_6
; %bb.1:
	v_not_b32_sdwa v0, v1 dst_sel:DWORD dst_unused:UNUSED_PAD src0_sel:BYTE_0
	v_cmp_ne_u32_sdwa s[6:7], v4, v1 src0_sel:DWORD src1_sel:BYTE_1
                                        ; implicit-def: $vgpr14_vgpr15
                                        ; implicit-def: $vgpr5_vgpr6
                                        ; kill: killed $vgpr5_vgpr6
                                        ; implicit-def: $vgpr8_vgpr9
	s_and_saveexec_b64 s[8:9], s[6:7]
	s_xor_b64 s[6:7], exec, s[8:9]
	s_cbranch_execz .LBB4_3
; %bb.2:
	flat_load_dwordx4 v[5:8], v[2:3] offset:72
	flat_load_dwordx2 v[9:10], v[2:3] offset:96
	v_add_u32_e32 v0, v4, v0
	v_ashrrev_i32_e32 v1, 31, v0
	s_waitcnt vmcnt(0) lgkmcnt(0)
	v_mul_lo_u32 v1, v7, v1
	v_mad_u64_u32 v[4:5], s[8:9], v7, v0, v[5:6]
	v_mul_lo_u32 v0, v8, v0
	v_lshrrev_b64 v[14:15], 12, v[9:10]
	v_mov_b32_e32 v9, v8
	v_mov_b32_e32 v8, v7
	v_add3_u32 v5, v0, v5, v1
	buffer_store_dword v4, off, s[0:3], s33 offset:260 ; 4-byte Folded Spill
	s_nop 0
	buffer_store_dword v5, off, s[0:3], s33 offset:264 ; 4-byte Folded Spill
                                        ; implicit-def: $vgpr1
                                        ; implicit-def: $vgpr0
.LBB4_3:
	s_andn2_saveexec_b64 s[6:7], s[6:7]
	s_cbranch_execz .LBB4_5
; %bb.4:
	flat_load_dwordx4 v[4:7], v[2:3] offset:72
	flat_load_dwordx4 v[8:11], v[2:3] offset:88
	v_add_u32_sdwa v0, v1, v0 dst_sel:DWORD dst_unused:UNUSED_PAD src0_sel:BYTE_1 src1_sel:DWORD
	v_ashrrev_i32_e32 v1, 31, v0
	s_waitcnt vmcnt(0) lgkmcnt(0)
	v_mul_lo_u32 v1, v6, v1
	v_mad_u64_u32 v[4:5], s[8:9], v6, v0, v[4:5]
	v_mul_lo_u32 v0, v7, v0
	v_lshrrev_b32_e32 v14, 1, v11
	v_add3_u32 v5, v0, v5, v1
	buffer_store_dword v4, off, s[0:3], s33 offset:260 ; 4-byte Folded Spill
	s_nop 0
	buffer_store_dword v5, off, s[0:3], s33 offset:264 ; 4-byte Folded Spill
.LBB4_5:
	s_or_b64 exec, exec, s[6:7]
.LBB4_6:
	s_andn2_saveexec_b64 s[4:5], s[4:5]
	s_cbranch_execz .LBB4_8
; %bb.7:
	flat_load_dwordx2 v[0:1], v[2:3] offset:96
	flat_load_dwordx2 v[8:9], v[2:3] offset:72
	s_waitcnt vmcnt(0) lgkmcnt(0)
	v_lshlrev_b64 v[14:15], 9, v[0:1]
	v_mov_b32_e32 v0, 0
	v_mov_b32_e32 v1, 0
	buffer_store_dword v0, off, s[0:3], s33 offset:260 ; 4-byte Folded Spill
	s_nop 0
	buffer_store_dword v1, off, s[0:3], s33 offset:264 ; 4-byte Folded Spill
.LBB4_8:
	s_or_b64 exec, exec, s[4:5]
	s_trap 2
	ds_read_b64 v[4:5], v0
	s_waitcnt lgkmcnt(0)
	v_cmp_ne_u32_e32 vcc, -1, v4
	v_cndmask_b32_e64 v1, 0, 1, vcc
	v_cmp_ne_u32_e32 vcc, -1, v5
	buffer_load_dword v5, off, s[0:3], s33 offset:276 ; 4-byte Folded Reload
	v_addc_co_u32_e64 v0, s[4:5], 0, v1, vcc
	v_lshlrev_b32_e32 v4, 1, v0
	s_waitcnt vmcnt(0)
	v_cmp_le_u32_e64 s[4:5], v4, v5
	s_and_saveexec_b64 s[6:7], s[4:5]
	s_xor_b64 s[6:7], exec, s[6:7]
                                        ; implicit-def: $vgpr62 : SGPR spill to VGPR lane
	v_writelane_b32 v62, s6, 0
	v_writelane_b32 v62, s7, 1
	s_cbranch_execz .LBB4_1244
; %bb.9:
	buffer_store_dword v8, off, s[0:3], s33 offset:244 ; 4-byte Folded Spill
	s_nop 0
	buffer_store_dword v9, off, s[0:3], s33 offset:248 ; 4-byte Folded Spill
	buffer_store_dword v10, off, s[0:3], s33 offset:252 ; 4-byte Folded Spill
	buffer_store_dword v11, off, s[0:3], s33 offset:256 ; 4-byte Folded Spill
	flat_load_dwordx4 v[10:13], v[2:3] offset:16
	s_nop 0
	flat_load_dwordx2 v[28:29], v[2:3] offset:104
	flat_load_ushort v7, v[2:3] offset:8
	flat_load_dword v6, v[2:3] offset:4
	s_trap 2
	s_load_dword s4, s[28:29], 0x0
	v_mov_b32_e32 v4, 0
	v_mov_b32_e32 v59, 4
	s_waitcnt lgkmcnt(0)
	s_cmp_lt_u32 s12, s4
	s_cselect_b32 s4, 12, 18
	s_add_u32 s4, s28, s4
	s_addc_u32 s5, s29, 0
	global_load_ushort v4, v4, s[4:5]
	v_cmp_ge_u32_e64 s[4:5], v60, v1
	s_waitcnt vmcnt(0)
	buffer_store_dword v4, off, s[0:3], s33 offset:292 ; 4-byte Folded Spill
	ds_read_b32 v4, v0
	s_waitcnt lgkmcnt(0)
	v_readfirstlane_b32 s9, v4
	s_and_saveexec_b64 s[6:7], s[4:5]
	s_cbranch_execz .LBB4_19
; %bb.10:
	v_cmp_ge_u32_e64 s[4:5], v60, v0
                                        ; implicit-def: $vgpr59
	s_and_saveexec_b64 s[10:11], s[4:5]
	s_xor_b64 s[4:5], exec, s[10:11]
	s_cbranch_execz .LBB4_16
; %bb.11:
	buffer_load_dword v5, off, s[0:3], s33 offset:276 ; 4-byte Folded Reload
	v_cndmask_b32_e64 v4, 0, 1, vcc
	s_waitcnt vmcnt(0)
	v_sub_u32_e32 v4, v5, v4
	v_cmp_ge_u32_e32 vcc, v60, v4
	s_and_saveexec_b64 s[10:11], vcc
	s_xor_b64 s[10:11], exec, s[10:11]
; %bb.12:
                                        ; implicit-def: $vgpr0
; %bb.13:
	s_or_saveexec_b64 s[10:11], s[10:11]
	v_mov_b32_e32 v59, 16
	s_xor_b64 exec, exec, s[10:11]
	s_cbranch_execz .LBB4_15
; %bb.14:
	buffer_load_dword v4, off, s[0:3], s33 offset:276 ; 4-byte Folded Reload
	s_waitcnt vmcnt(0)
	v_sub_u32_e32 v0, v4, v0
	v_cmp_lt_i32_e32 vcc, v60, v0
	v_cndmask_b32_e64 v59, 32, 0, vcc
.LBB4_15:
	s_or_b64 exec, exec, s[10:11]
.LBB4_16:
	s_andn2_saveexec_b64 s[4:5], s[4:5]
; %bb.17:
	v_mov_b32_e32 v59, 8
; %bb.18:
	s_or_b64 exec, exec, s[4:5]
.LBB4_19:
	s_or_b64 exec, exec, s[6:7]
	v_and_b32_e32 v0, 36, v59
	v_cmp_ne_u32_e32 vcc, 0, v0
	v_mov_b32_e32 v8, -1
	s_and_saveexec_b64 s[4:5], vcc
	s_cbranch_execz .LBB4_21
; %bb.20:
	s_trap 2
	ds_read_b32 v8, v0
.LBB4_21:
	s_or_b64 exec, exec, s[4:5]
	v_and_b32_e32 v0, 24, v59
	v_cmp_ne_u32_e64 s[4:5], 0, v0
	s_and_saveexec_b64 s[6:7], s[4:5]
	s_cbranch_execz .LBB4_23
; %bb.22:
	s_trap 2
	s_waitcnt lgkmcnt(0)
	ds_read_b32 v8, v0
.LBB4_23:
	s_or_b64 exec, exec, s[6:7]
	v_lshrrev_b64 v[4:5], 31, v[6:7]
	v_mov_b32_e32 v5, 0
	v_mov_b32_e32 v6, 0
	;; [unrolled: 1-line block ×3, first 2 shown]
	buffer_store_dword v5, off, s[0:3], s33 offset:280 ; 4-byte Folded Spill
	s_nop 0
	buffer_store_dword v6, off, s[0:3], s33 offset:284 ; 4-byte Folded Spill
	v_mov_b32_e32 v17, 0
	v_and_b32_e32 v0, 3, v4
                                        ; implicit-def: $vgpr4_vgpr5
                                        ; kill: killed $vgpr4_vgpr5
                                        ; implicit-def: $vgpr61
                                        ; implicit-def: $vgpr20_vgpr21
                                        ; implicit-def: $vgpr56_vgpr57
                                        ; implicit-def: $vgpr32_vgpr33
                                        ; implicit-def: $vgpr22_vgpr23
	s_and_saveexec_b64 s[4:5], vcc
	s_cbranch_execz .LBB4_33
; %bb.24:
	s_trap 2
	ds_read_b64 v[4:5], v0
	s_waitcnt lgkmcnt(1)
	v_ashrrev_i32_e32 v9, 31, v8
	v_lshlrev_b64 v[6:7], 3, v[8:9]
	s_movk_i32 s6, 0xa8
	s_waitcnt lgkmcnt(0)
	v_add_co_u32_e32 v4, vcc, v4, v6
	v_addc_co_u32_e32 v5, vcc, v5, v7, vcc
	flat_load_dwordx2 v[4:5], v[4:5]
	v_and_b32_e32 v6, 0xffff, v0
	s_waitcnt vmcnt(0) lgkmcnt(0)
	v_mad_u64_u32 v[26:27], s[6:7], v6, s6, v[4:5]
	flat_load_dword v4, v[26:27] offset:640
	s_waitcnt vmcnt(0) lgkmcnt(0)
	v_cmp_eq_u32_e32 vcc, 1, v4
                                        ; implicit-def: $vgpr4_vgpr5
                                        ; kill: killed $vgpr4_vgpr5
	s_and_saveexec_b64 s[6:7], vcc
	s_cbranch_execz .LBB4_26
; %bb.25:
	flat_load_dwordx2 v[6:7], v[26:27] offset:648
	v_or_b32_e32 v59, 0x2000, v59
	s_waitcnt vmcnt(0) lgkmcnt(0)
	flat_load_dwordx2 v[4:5], v[6:7]
	s_trap 2
	s_waitcnt vmcnt(0) lgkmcnt(0)
	ds_write_b64 v0, v[4:5]
	flat_load_dwordx2 v[4:5], v[6:7] offset:8
	s_waitcnt vmcnt(0) lgkmcnt(0)
	ds_write_b64 v0, v[4:5]
	buffer_store_dword v6, off, s[0:3], s33 offset:296 ; 4-byte Folded Spill
	s_nop 0
	buffer_store_dword v7, off, s[0:3], s33 offset:300 ; 4-byte Folded Spill
	flat_load_dwordx2 v[4:5], v[6:7] offset:16
	s_waitcnt vmcnt(0) lgkmcnt(0)
	ds_write_b64 v0, v[4:5]
.LBB4_26:
	s_or_b64 exec, exec, s[6:7]
	flat_load_dwordx2 v[4:5], v[26:27] offset:608
	v_and_b32_e32 v6, 32, v59
                                        ; implicit-def: $vgpr22_vgpr23
	s_waitcnt vmcnt(0) lgkmcnt(0)
	v_add_co_u32_e32 v4, vcc, 3, v4
	v_addc_co_u32_e32 v21, vcc, 0, v5, vcc
	v_and_b32_e32 v20, -4, v4
	v_cmp_ne_u32_e32 vcc, 0, v6
	s_and_saveexec_b64 s[6:7], vcc
	s_cbranch_execz .LBB4_28
; %bb.27:
	flat_load_dwordx2 v[22:23], v[26:27] offset:560
	s_waitcnt vmcnt(0) lgkmcnt(0)
	flat_store_dwordx2 v[22:23], v[20:21]
.LBB4_28:
	s_or_b64 exec, exec, s[6:7]
	v_add_co_u32_e32 v4, vcc, 0x1f8, v26
	v_addc_co_u32_e32 v5, vcc, 0, v27, vcc
	buffer_store_dword v4, off, s[0:3], s33 offset:280 ; 4-byte Folded Spill
	s_nop 0
	buffer_store_dword v5, off, s[0:3], s33 offset:284 ; 4-byte Folded Spill
	v_and_b32_e32 v4, 4, v59
	v_mov_b32_e32 v16, 0
	v_mov_b32_e32 v17, 0
	v_cmp_ne_u32_e32 vcc, 0, v4
                                        ; implicit-def: $vgpr61
                                        ; implicit-def: $vgpr56_vgpr57
                                        ; implicit-def: $vgpr32_vgpr33
	s_and_saveexec_b64 s[6:7], vcc
	s_cbranch_execz .LBB4_32
; %bb.29:
	v_and_b32_e32 v4, 0x800, v59
	v_cmp_eq_u32_e32 vcc, 0, v4
	s_and_saveexec_b64 s[10:11], vcc
	s_cbranch_execz .LBB4_31
; %bb.30:
	s_trap 2
	buffer_load_dword v4, off, s[0:3], s33 offset:280 ; 4-byte Folded Reload
	buffer_load_dword v5, off, s[0:3], s33 offset:284 ; 4-byte Folded Reload
	s_waitcnt vmcnt(0)
	ds_write_b64 v0, v[4:5]
.LBB4_31:
	s_or_b64 exec, exec, s[10:11]
	flat_load_dwordx2 v[22:23], v[26:27] offset:552
	v_or_b32_e32 v4, 0x100, v59
	s_waitcnt vmcnt(0) lgkmcnt(0)
	flat_load_dwordx2 v[32:33], v[22:23] glc
	flat_load_dwordx2 v[16:17], v[26:27] offset:600
	flat_load_dword v61, v[26:27] offset:576
	flat_load_dwordx2 v[56:57], v[26:27] offset:520
	s_waitcnt vmcnt(0) lgkmcnt(0)
	v_cmp_eq_u64_e32 vcc, 0, v[16:17]
	v_cndmask_b32_e32 v59, v4, v59, vcc
.LBB4_32:
	s_or_b64 exec, exec, s[6:7]
.LBB4_33:
	s_or_b64 exec, exec, s[4:5]
	v_and_b32_e32 v4, 24, v59
	v_cmp_ne_u32_e32 vcc, 0, v4
                                        ; implicit-def: $vgpr46_vgpr47
	s_and_saveexec_b64 s[4:5], vcc
	s_cbranch_execz .LBB4_41
; %bb.34:
	s_trap 2
	ds_read_b64 v[4:5], v0
	s_waitcnt lgkmcnt(0)
	v_ashrrev_i32_e32 v9, 31, v8
	v_lshlrev_b64 v[6:7], 3, v[8:9]
	v_and_b32_e32 v0, 0xffff, v0
	s_movk_i32 s6, 0xa8
	v_add_co_u32_e32 v4, vcc, v4, v6
	v_addc_co_u32_e32 v5, vcc, v5, v7, vcc
	flat_load_dwordx2 v[4:5], v[4:5]
                                        ; implicit-def: $vgpr46_vgpr47
	s_waitcnt vmcnt(0) lgkmcnt(0)
	v_mad_u64_u32 v[4:5], s[6:7], v0, s6, v[4:5]
	buffer_store_dword v4, off, s[0:3], s33 offset:280 ; 4-byte Folded Spill
	s_nop 0
	buffer_store_dword v5, off, s[0:3], s33 offset:284 ; 4-byte Folded Spill
	v_or_b32_e32 v0, 0x100, v59
	flat_load_dwordx4 v[16:19], v[4:5] offset:96
	s_waitcnt vmcnt(0) lgkmcnt(0)
	v_cmp_eq_u64_e32 vcc, 0, v[16:17]
	v_cndmask_b32_e32 v59, v0, v59, vcc
	v_and_b32_e32 v0, 16, v59
	v_cmp_ne_u32_e32 vcc, 0, v0
	s_and_saveexec_b64 s[6:7], vcc
	s_cbranch_execz .LBB4_36
; %bb.35:
	buffer_load_dword v4, off, s[0:3], s33 offset:280 ; 4-byte Folded Reload
	buffer_load_dword v5, off, s[0:3], s33 offset:284 ; 4-byte Folded Reload
	s_waitcnt vmcnt(0)
	flat_load_dwordx2 v[22:23], v[4:5] offset:48
	flat_load_dwordx2 v[46:47], v[4:5] offset:120
	;; [unrolled: 1-line block ×3, first 2 shown]
.LBB4_36:
	s_or_b64 exec, exec, s[6:7]
	v_add_co_u32_e32 v0, vcc, 3, v18
	v_addc_co_u32_e32 v21, vcc, 0, v19, vcc
	v_and_b32_e32 v20, -4, v0
	v_and_b32_e32 v0, 8, v59
	v_cmp_ne_u32_e32 vcc, 0, v0
	s_and_saveexec_b64 s[6:7], vcc
	s_cbranch_execz .LBB4_40
; %bb.37:
	v_and_b32_e32 v0, 0x800, v59
	v_cmp_eq_u32_e32 vcc, 0, v0
	s_and_saveexec_b64 s[10:11], vcc
	s_cbranch_execz .LBB4_39
; %bb.38:
	s_trap 2
	buffer_load_dword v4, off, s[0:3], s33 offset:280 ; 4-byte Folded Reload
	buffer_load_dword v5, off, s[0:3], s33 offset:284 ; 4-byte Folded Reload
	s_waitcnt vmcnt(0)
	ds_write_b64 v0, v[4:5]
.LBB4_39:
	s_or_b64 exec, exec, s[10:11]
	buffer_load_dword v4, off, s[0:3], s33 offset:280 ; 4-byte Folded Reload
	buffer_load_dword v5, off, s[0:3], s33 offset:284 ; 4-byte Folded Reload
	s_waitcnt vmcnt(0) lgkmcnt(0)
	flat_load_dwordx2 v[22:23], v[4:5] offset:56
	s_waitcnt vmcnt(0) lgkmcnt(0)
	flat_load_dwordx2 v[32:33], v[22:23] glc
	flat_load_dword v61, v[4:5] offset:72
	flat_load_dwordx2 v[56:57], v[4:5] offset:16
.LBB4_40:
	s_or_b64 exec, exec, s[6:7]
.LBB4_41:
	s_or_b64 exec, exec, s[4:5]
	v_cmp_eq_u32_e64 s[4:5], 0, v60
	s_and_saveexec_b64 s[6:7], s[4:5]
	s_cbranch_execz .LBB4_43
; %bb.42:
	flat_load_dwordx2 v[4:5], v[2:3] offset:32
	v_mov_b32_e32 v6, v12
	v_mov_b32_e32 v7, v13
	s_waitcnt lgkmcnt(0)
	v_mov_b32_e32 v8, v10
	v_mov_b32_e32 v9, v11
	ds_write2_b64 v0, v[6:7], v[8:9] offset1:1
	s_trap 2
	s_waitcnt vmcnt(0)
	ds_write_b64 v0, v[4:5]
	ds_write_b64 v0, v[28:29]
.LBB4_43:
	s_or_b64 exec, exec, s[6:7]
	buffer_load_dword v4, off, s[0:3], s33 offset:244 ; 4-byte Folded Reload
	buffer_load_dword v5, off, s[0:3], s33 offset:248 ; 4-byte Folded Reload
	;; [unrolled: 1-line block ×4, first 2 shown]
	v_mov_b32_e32 v28, 0
	v_mov_b32_e32 v29, 0
	s_waitcnt vmcnt(0)
	v_cmp_lt_i64_e32 vcc, 0, v[4:5]
	s_mov_b64 s[6:7], exec
	v_writelane_b32 v62, s6, 2
	v_writelane_b32 v62, s7, 3
	s_and_b64 s[6:7], s[6:7], vcc
	s_mov_b64 exec, s[6:7]
	s_cbranch_execz .LBB4_1210
; %bb.44:
	v_mov_b32_e32 v34, 0
	v_and_b32_e32 v6, 0x3ffffe00, v14
	v_mov_b32_e32 v7, v34
	flat_load_dword v0, v[2:3] offset:4
	v_writelane_b32 v62, s28, 4
	buffer_load_dword v2, off, s[0:3], s33 offset:276 ; 4-byte Folded Reload
	buffer_load_dword v3, off, s[0:3], s33 offset:288 ; 4-byte Folded Reload
	s_trap 2
	buffer_load_dword v4, off, s[0:3], s33 offset:292 ; 4-byte Folded Reload
	s_nop 0
	buffer_store_dword v6, off, s[0:3], s33 offset:172 ; 4-byte Folded Spill
	s_nop 0
	buffer_store_dword v7, off, s[0:3], s33 offset:176 ; 4-byte Folded Spill
	s_ashr_i32 s53, s52, 31
	v_writelane_b32 v62, s29, 5
	v_lshrrev_b32_e32 v5, 6, v60
	s_movk_i32 s8, 0x400
	buffer_store_dword v5, off, s[0:3], s33 offset:124 ; 4-byte Folded Spill
	s_waitcnt lgkmcnt(0)
	v_cmp_eq_u64_e64 s[12:13], 0, v[46:47]
	v_cmp_ne_u64_e64 s[14:15], 0, v[46:47]
	v_mov_b32_e32 v28, 0
	v_mov_b32_e32 v13, 0
	v_ashrrev_i32_e32 v58, 31, v61
	s_mov_b64 s[58:59], 0
	v_mov_b32_e32 v45, 1
	s_movk_i32 s54, 0xffc0
	s_movk_i32 s55, 0x108
	s_mov_b32 s64, 0x7020500
	s_movk_i32 s65, 0xfc40
	s_movk_i32 s66, 0xfc80
	s_movk_i32 s67, 0xfcc0
	s_movk_i32 s68, 0xfd00
	s_movk_i32 s69, 0xfd40
	s_movk_i32 s70, 0xfd80
	s_movk_i32 s71, 0xfdc0
	s_movk_i32 s80, 0xfe00
	s_movk_i32 s81, 0xfe40
	s_movk_i32 s82, 0xfe80
	s_movk_i32 s83, 0xfec0
	s_movk_i32 s84, 0xff00
	s_movk_i32 s85, 0xff40
	s_movk_i32 s86, 0xff80
	s_mov_b32 s87, 0xc0c0500
	v_mov_b32_e32 v50, 0xc8
	v_mov_b32_e32 v54, 0x90
	;; [unrolled: 1-line block ×4, first 2 shown]
	s_waitcnt vmcnt(0)
	v_and_b32_e32 v0, 1, v0
	v_and_b32_e32 v31, 0x3fc0, v2
	;; [unrolled: 1-line block ×3, first 2 shown]
	v_lshrrev_b32_e32 v39, 6, v2
	v_mad_i64_i32 v[6:7], s[16:17], v6, s52, 0
	v_cmp_ne_u32_sdwa s[56:57], v2, v4 src0_sel:DWORD src1_sel:WORD_0
	v_and_b32_e32 v4, 63, v60
	s_add_u32 s16, s52, -1
	v_writelane_b32 v62, s16, 6
	v_cmp_eq_u32_e64 s[16:17], 0, v3
	v_lshlrev_b32_e32 v3, 4, v4
	v_subrev_u32_e32 v41, 64, v31
	v_cmp_ge_u32_e32 vcc, v60, v2
	v_cmp_eq_u32_e64 s[6:7], 64, v2
	v_cmp_ne_u32_e64 s[10:11], 64, v2
	v_cmp_lt_u32_e64 s[20:21], v4, v1
	v_lshlrev_b32_e32 v2, 12, v39
	v_lshlrev_b32_e32 v51, 10, v39
	v_cmp_le_u32_e64 s[22:23], v4, v1
	v_lshl_or_b32 v1, v5, 11, v3
	v_ashrrev_i32_e32 v40, 31, v41
	v_add_co_u32_e64 v36, s[24:25], 64, v41
	buffer_store_dword v2, off, s[0:3], s33 offset:196 ; 4-byte Folded Spill
	buffer_store_dword v1, off, s[0:3], s33 offset:180 ; 4-byte Folded Spill
	v_add_u32_e32 v37, 0xfffffc00, v51
	v_lshl_or_b32 v1, v5, 12, v3
	v_addc_co_u32_e64 v2, s[24:25], 0, v40, s[24:25]
	buffer_store_dword v1, off, s[0:3], s33 offset:148 ; 4-byte Folded Spill
	v_ashrrev_i32_e32 v1, 31, v37
	buffer_store_dword v2, off, s[0:3], s33 offset:64 ; 4-byte Folded Spill
	v_add_co_u32_e64 v2, s[24:25], s8, v37
	buffer_store_dword v4, off, s[0:3], s33 offset:160 ; 4-byte Folded Spill
	buffer_store_dword v2, off, s[0:3], s33 offset:76 ; 4-byte Folded Spill
	;; [unrolled: 1-line block ×3, first 2 shown]
	v_addc_co_u32_e64 v1, s[24:25], 0, v1, s[24:25]
	buffer_store_dword v1, off, s[0:3], s33 offset:80 ; 4-byte Folded Spill
	v_cmp_eq_u32_e64 s[24:25], 1, v0
	buffer_load_dword v0, off, s[0:3], s33 offset:244 ; 4-byte Folded Reload
	buffer_load_dword v1, off, s[0:3], s33 offset:248 ; 4-byte Folded Reload
	buffer_load_dword v2, off, s[0:3], s33 offset:252 ; 4-byte Folded Reload
	buffer_load_dword v3, off, s[0:3], s33 offset:256 ; 4-byte Folded Reload
	s_addc_u32 s97, s53, -1
	s_add_i32 s98, s52, s52
	s_not_b32 s26, s52
	s_cmp_gt_i32 s52, 0
	s_cselect_b32 s26, s26, -1
	s_ashr_i32 s27, s9, 31
	s_lshr_b32 s8, s27, 25
	s_add_i32 s99, s26, s98
	s_add_i32 s9, s9, s8
	s_ashr_i32 s46, s99, 31
	s_ashr_i32 s47, s9, 7
	s_cmp_gt_i32 s52, 2
	s_cselect_b64 s[60:61], -1, 0
	s_add_i32 s8, s52, 1
	s_xor_b64 s[62:63], s[24:25], -1
	s_cmp_ge_i32 s8, s52
	s_cselect_b32 s9, s52, 0
	s_sub_i32 s45, s8, s9
	s_waitcnt vmcnt(0)
	v_mov_b32_e32 v2, v16
	v_cmp_eq_u32_e64 s[18:19], 0, v4
	v_lshlrev_b32_e32 v30, 11, v39
	s_add_i32 s44, s52, -2
	s_xor_b64 s[72:73], vcc, -1
	s_ashr_i32 s96, s45, 31
	s_ashr_i32 s74, s53, 31
	v_mov_b32_e32 v3, v17
	buffer_store_dword v2, off, s[0:3], s33 offset:92 ; 4-byte Folded Spill
	s_nop 0
	buffer_store_dword v3, off, s[0:3], s33 offset:96 ; 4-byte Folded Spill
	buffer_store_dword v4, off, s[0:3], s33 offset:100 ; 4-byte Folded Spill
	;; [unrolled: 1-line block ×5, first 2 shown]
	s_nop 0
	buffer_store_dword v57, off, s[0:3], s33 offset:144 ; 4-byte Folded Spill
	buffer_store_dword v46, off, s[0:3], s33 offset:132 ; 4-byte Folded Spill
	s_nop 0
	buffer_store_dword v47, off, s[0:3], s33 offset:136 ; 4-byte Folded Spill
	buffer_store_dword v58, off, s[0:3], s33 offset:184 ; 4-byte Folded Spill
	buffer_store_dword v39, off, s[0:3], s33 offset:56 ; 4-byte Folded Spill
	buffer_store_dword v31, off, s[0:3], s33 offset:128 ; 4-byte Folded Spill
	buffer_store_dword v6, off, s[0:3], s33 offset:268 ; 4-byte Folded Spill
	s_nop 0
	buffer_store_dword v7, off, s[0:3], s33 offset:272 ; 4-byte Folded Spill
	buffer_store_dword v51, off, s[0:3], s33 offset:60 ; 4-byte Folded Spill
	;; [unrolled: 1-line block ×8, first 2 shown]
	s_branch .LBB4_47
.LBB4_45:                               ;   in Loop: Header=BB4_47 Depth=1
	s_or_b64 exec, exec, s[40:41]
.LBB4_46:                               ;   in Loop: Header=BB4_47 Depth=1
	s_or_b64 exec, exec, s[28:29]
	buffer_load_dword v6, off, s[0:3], s33 offset:268 ; 4-byte Folded Reload
	buffer_load_dword v7, off, s[0:3], s33 offset:272 ; 4-byte Folded Reload
	;; [unrolled: 1-line block ×8, first 2 shown]
	s_waitcnt vmcnt(0)
	v_add_co_u32_e32 v13, vcc, v13, v6
	v_addc_co_u32_e32 v14, vcc, v14, v7, vcc
	v_cmp_ge_i64_e32 vcc, v[13:14], v[0:1]
	s_or_b64 s[58:59], vcc, s[58:59]
	s_andn2_b64 exec, exec, s[58:59]
	s_cbranch_execz .LBB4_1209
.LBB4_47:                               ; =>This Loop Header: Depth=1
                                        ;     Child Loop BB4_57 Depth 2
                                        ;       Child Loop BB4_65 Depth 3
                                        ;       Child Loop BB4_89 Depth 3
	;; [unrolled: 1-line block ×9, first 2 shown]
                                        ;     Child Loop BB4_197 Depth 2
                                        ;       Child Loop BB4_203 Depth 3
                                        ;       Child Loop BB4_227 Depth 3
	;; [unrolled: 1-line block ×3, first 2 shown]
                                        ;     Child Loop BB4_269 Depth 2
                                        ;       Child Loop BB4_272 Depth 3
                                        ;         Child Loop BB4_280 Depth 4
                                        ;         Child Loop BB4_308 Depth 4
	;; [unrolled: 1-line block ×9, first 2 shown]
                                        ;       Child Loop BB4_416 Depth 3
                                        ;         Child Loop BB4_422 Depth 4
                                        ;         Child Loop BB4_450 Depth 4
	;; [unrolled: 1-line block ×3, first 2 shown]
                                        ;     Child Loop BB4_491 Depth 2
                                        ;       Child Loop BB4_499 Depth 3
                                        ;       Child Loop BB4_527 Depth 3
	;; [unrolled: 1-line block ×5, first 2 shown]
                                        ;         Child Loop BB4_574 Depth 4
                                        ;       Child Loop BB4_588 Depth 3
                                        ;       Child Loop BB4_593 Depth 3
                                        ;         Child Loop BB4_594 Depth 4
                                        ;       Child Loop BB4_606 Depth 3
                                        ;       Child Loop BB4_611 Depth 3
	;; [unrolled: 1-line block ×6, first 2 shown]
                                        ;     Child Loop BB4_671 Depth 2
                                        ;       Child Loop BB4_677 Depth 3
                                        ;       Child Loop BB4_705 Depth 3
	;; [unrolled: 1-line block ×3, first 2 shown]
                                        ;     Child Loop BB4_747 Depth 2
                                        ;       Child Loop BB4_750 Depth 3
                                        ;         Child Loop BB4_758 Depth 4
                                        ;         Child Loop BB4_786 Depth 4
	;; [unrolled: 1-line block ×9, first 2 shown]
                                        ;           Child Loop BB4_840 Depth 5
                                        ;         Child Loop BB4_847 Depth 4
                                        ;         Child Loop BB4_852 Depth 4
                                        ;           Child Loop BB4_853 Depth 5
                                        ;         Child Loop BB4_889 Depth 4
                                        ;         Child Loop BB4_908 Depth 4
                                        ;       Child Loop BB4_926 Depth 3
                                        ;         Child Loop BB4_932 Depth 4
                                        ;         Child Loop BB4_960 Depth 4
	;; [unrolled: 1-line block ×3, first 2 shown]
                                        ;     Child Loop BB4_1005 Depth 2
                                        ;       Child Loop BB4_1013 Depth 3
                                        ;       Child Loop BB4_1037 Depth 3
	;; [unrolled: 1-line block ×9, first 2 shown]
                                        ;     Child Loop BB4_1143 Depth 2
                                        ;       Child Loop BB4_1149 Depth 3
                                        ;       Child Loop BB4_1173 Depth 3
	;; [unrolled: 1-line block ×3, first 2 shown]
	v_sub_co_u32_e32 v0, vcc, v0, v13
	v_subb_co_u32_e32 v1, vcc, v1, v14, vcc
	buffer_store_dword v0, off, s[0:3], s33 offset:164 ; 4-byte Folded Spill
	s_nop 0
	buffer_store_dword v1, off, s[0:3], s33 offset:168 ; 4-byte Folded Spill
	v_cmp_lt_i64_e32 vcc, v[0:1], v[6:7]
	s_and_saveexec_b64 s[28:29], vcc
	s_cbranch_execz .LBB4_53
; %bb.48:                               ;   in Loop: Header=BB4_47 Depth=1
	buffer_load_dword v2, off, s[0:3], s33 offset:164 ; 4-byte Folded Reload
	buffer_load_dword v3, off, s[0:3], s33 offset:168 ; 4-byte Folded Reload
	v_readlane_b32 s8, v62, 6
	v_mov_b32_e32 v1, s97
                                        ; implicit-def: $vgpr8_vgpr9
	s_waitcnt vmcnt(0)
	v_add_co_u32_e32 v0, vcc, s8, v2
	s_waitcnt vmcnt(0)
	v_addc_co_u32_e32 v1, vcc, v1, v3, vcc
	v_or_b32_e32 v35, s53, v1
	v_cmp_ne_u64_e32 vcc, 0, v[34:35]
	s_and_saveexec_b64 s[8:9], vcc
	s_xor_b64 s[40:41], exec, s[8:9]
	s_cbranch_execz .LBB4_50
; %bb.49:                               ;   in Loop: Header=BB4_47 Depth=1
	s_add_u32 s8, s52, s74
	s_mov_b32 s75, s74
	s_addc_u32 s9, s53, s74
	s_xor_b64 s[42:43], s[8:9], s[74:75]
	v_cvt_f32_u32_e32 v3, s42
	v_cvt_f32_u32_e32 v4, s43
	s_sub_u32 s26, 0, s42
	s_subb_u32 s27, 0, s43
	v_ashrrev_i32_e32 v5, 31, v1
	v_mac_f32_e32 v3, 0x4f800000, v4
	v_rcp_f32_e32 v3, v3
	v_add_co_u32_e32 v0, vcc, v0, v5
	v_xor_b32_e32 v6, v0, v5
	v_mul_f32_e32 v3, 0x5f7ffffc, v3
	v_mul_f32_e32 v4, 0x2f800000, v3
	v_trunc_f32_e32 v4, v4
	v_mac_f32_e32 v3, 0xcf800000, v4
	v_cvt_u32_f32_e32 v4, v4
	v_cvt_u32_f32_e32 v3, v3
	v_readfirstlane_b32 s75, v4
	v_readfirstlane_b32 s8, v3
	s_mul_i32 s9, s26, s75
	s_mul_hi_u32 s77, s26, s8
	s_mul_i32 s76, s27, s8
	s_add_i32 s9, s77, s9
	s_add_i32 s9, s9, s76
	s_mul_i32 s78, s26, s8
	s_mul_i32 s77, s8, s9
	s_mul_hi_u32 s79, s8, s78
	s_mul_hi_u32 s76, s8, s9
	s_add_u32 s77, s79, s77
	s_addc_u32 s76, 0, s76
	s_mul_hi_u32 s88, s75, s78
	s_mul_i32 s78, s75, s78
	s_add_u32 s77, s77, s78
	s_mul_hi_u32 s79, s75, s9
	s_addc_u32 s76, s76, s88
	s_addc_u32 s77, s79, 0
	s_mul_i32 s9, s75, s9
	s_add_u32 s9, s76, s9
	s_addc_u32 s76, 0, s77
	s_add_u32 s77, s8, s9
	s_cselect_b64 s[8:9], -1, 0
	s_cmp_lg_u64 s[8:9], 0
	s_addc_u32 s75, s75, s76
	s_mul_i32 s8, s26, s75
	s_mul_hi_u32 s9, s26, s77
	s_add_i32 s8, s9, s8
	s_mul_i32 s27, s27, s77
	s_add_i32 s8, s8, s27
	s_mul_i32 s26, s26, s77
	s_mul_hi_u32 s27, s75, s26
	s_mul_i32 s76, s75, s26
	s_mul_i32 s79, s77, s8
	s_mul_hi_u32 s26, s77, s26
	s_mul_hi_u32 s78, s77, s8
	s_add_u32 s26, s26, s79
	s_addc_u32 s78, 0, s78
	s_add_u32 s26, s26, s76
	s_mul_hi_u32 s9, s75, s8
	s_addc_u32 s26, s78, s27
	s_addc_u32 s9, s9, 0
	s_mul_i32 s8, s75, s8
	s_add_u32 s8, s26, s8
	s_addc_u32 s26, 0, s9
	s_add_u32 s27, s77, s8
	s_cselect_b64 s[8:9], -1, 0
	s_cmp_lg_u64 s[8:9], 0
	s_addc_u32 s26, s75, s26
	v_addc_co_u32_e32 v3, vcc, v1, v5, vcc
	v_mad_u64_u32 v[0:1], s[8:9], v6, s26, 0
	v_mul_hi_u32 v4, v6, s27
	v_xor_b32_e32 v8, v3, v5
	v_add_co_u32_e32 v9, vcc, v4, v0
	v_addc_co_u32_e32 v10, vcc, 0, v1, vcc
	v_mad_u64_u32 v[0:1], s[8:9], v8, s27, 0
	v_mad_u64_u32 v[3:4], s[8:9], v8, s26, 0
	v_add_co_u32_e32 v0, vcc, v9, v0
	v_addc_co_u32_e32 v0, vcc, v10, v1, vcc
	v_addc_co_u32_e32 v1, vcc, 0, v4, vcc
	v_add_co_u32_e32 v3, vcc, v0, v3
	v_addc_co_u32_e32 v4, vcc, 0, v1, vcc
	v_mul_lo_u32 v9, s43, v3
	v_mul_lo_u32 v10, s42, v4
	v_mad_u64_u32 v[0:1], s[8:9], s42, v3, 0
	v_add3_u32 v1, v1, v10, v9
	v_sub_u32_e32 v9, v8, v1
	v_mov_b32_e32 v10, s43
	v_sub_co_u32_e32 v0, vcc, v6, v0
	v_subb_co_u32_e64 v6, s[26:27], v9, v10, vcc
	v_subrev_co_u32_e64 v9, s[26:27], s42, v0
	v_subbrev_co_u32_e64 v6, s[26:27], 0, v6, s[26:27]
	v_cmp_le_u32_e64 s[26:27], s43, v6
	v_cndmask_b32_e64 v10, 0, -1, s[26:27]
	v_cmp_le_u32_e64 s[26:27], s42, v9
	v_cndmask_b32_e64 v9, 0, -1, s[26:27]
	v_cmp_eq_u32_e64 s[26:27], s43, v6
	v_cndmask_b32_e64 v6, v10, v9, s[26:27]
	v_add_co_u32_e64 v9, s[26:27], 2, v3
	v_subb_co_u32_e32 v1, vcc, v8, v1, vcc
	v_addc_co_u32_e64 v10, s[26:27], 0, v4, s[26:27]
	v_cmp_le_u32_e32 vcc, s43, v1
	v_add_co_u32_e64 v11, s[26:27], 1, v3
	v_cndmask_b32_e64 v8, 0, -1, vcc
	v_cmp_le_u32_e32 vcc, s42, v0
	v_addc_co_u32_e64 v12, s[26:27], 0, v4, s[26:27]
	v_cndmask_b32_e64 v0, 0, -1, vcc
	v_cmp_eq_u32_e32 vcc, s43, v1
	v_cmp_ne_u32_e64 s[26:27], 0, v6
	v_cndmask_b32_e32 v0, v8, v0, vcc
	v_cmp_ne_u32_e32 vcc, 0, v0
	v_cndmask_b32_e64 v1, v11, v9, s[26:27]
	v_cndmask_b32_e64 v6, v12, v10, s[26:27]
	v_cndmask_b32_e32 v1, v3, v1, vcc
	v_xor_b32_e32 v3, s74, v5
	v_cndmask_b32_e32 v0, v4, v6, vcc
	v_xor_b32_e32 v1, v1, v3
	v_xor_b32_e32 v0, v0, v3
	v_sub_co_u32_e32 v8, vcc, v1, v3
	v_subb_co_u32_e32 v9, vcc, v0, v3, vcc
                                        ; implicit-def: $vgpr0
.LBB4_50:                               ;   in Loop: Header=BB4_47 Depth=1
	s_andn2_saveexec_b64 s[26:27], s[40:41]
	s_cbranch_execz .LBB4_52
; %bb.51:                               ;   in Loop: Header=BB4_47 Depth=1
	v_cvt_f32_u32_e32 v1, s52
	s_sub_i32 s8, 0, s52
	v_mov_b32_e32 v9, v34
	v_rcp_iflag_f32_e32 v1, v1
	v_mul_f32_e32 v1, 0x4f7ffffe, v1
	v_cvt_u32_f32_e32 v1, v1
	v_mul_lo_u32 v3, s8, v1
	v_mul_hi_u32 v3, v1, v3
	v_add_u32_e32 v1, v1, v3
	v_mul_hi_u32 v1, v0, v1
	v_mul_lo_u32 v3, v1, s52
	v_add_u32_e32 v4, 1, v1
	v_sub_u32_e32 v0, v0, v3
	v_subrev_u32_e32 v3, s52, v0
	v_cmp_le_u32_e32 vcc, s52, v0
	v_cndmask_b32_e32 v0, v0, v3, vcc
	v_cndmask_b32_e32 v1, v1, v4, vcc
	v_add_u32_e32 v3, 1, v1
	v_cmp_le_u32_e32 vcc, s52, v0
	v_cndmask_b32_e32 v8, v1, v3, vcc
.LBB4_52:                               ;   in Loop: Header=BB4_47 Depth=1
	s_or_b64 exec, exec, s[26:27]
	v_add_co_u32_e32 v0, vcc, 15, v8
	v_addc_co_u32_e32 v1, vcc, 0, v9, vcc
	v_and_b32_e32 v0, -16, v0
	buffer_store_dword v0, off, s[0:3], s33 offset:172 ; 4-byte Folded Spill
	s_nop 0
	buffer_store_dword v1, off, s[0:3], s33 offset:176 ; 4-byte Folded Spill
.LBB4_53:                               ;   in Loop: Header=BB4_47 Depth=1
	s_or_b64 exec, exec, s[28:29]
	buffer_load_dword v2, off, s[0:3], s33 offset:172 ; 4-byte Folded Reload
	buffer_load_dword v3, off, s[0:3], s33 offset:176 ; 4-byte Folded Reload
	v_mov_b32_e32 v41, 0
	s_waitcnt vmcnt(0)
	v_mul_lo_u32 v1, v2, s46
	s_waitcnt vmcnt(0)
	v_mul_lo_u32 v0, v3, s99
	v_mad_u64_u32 v[10:11], s[8:9], v2, s99, 0
	v_add3_u32 v11, v11, v1, v0
	buffer_load_dword v0, off, s[0:3], s33 offset:260 ; 4-byte Folded Reload
	buffer_load_dword v1, off, s[0:3], s33 offset:264 ; 4-byte Folded Reload
	s_waitcnt vmcnt(0)
	v_add_co_u32_e32 v0, vcc, v13, v0
	buffer_store_dword v0, off, s[0:3], s33 offset:84 ; 4-byte Folded Spill
	buffer_store_dword v13, off, s[0:3], s33 offset:228 ; 4-byte Folded Spill
	s_nop 0
	buffer_store_dword v14, off, s[0:3], s33 offset:232 ; 4-byte Folded Spill
	s_waitcnt vmcnt(3)
	v_addc_co_u32_e32 v0, vcc, v14, v1, vcc
	buffer_store_dword v0, off, s[0:3], s33 offset:88 ; 4-byte Folded Spill
	buffer_load_dword v0, off, s[0:3], s33 offset:164 ; 4-byte Folded Reload
	s_nop 0
	buffer_load_dword v1, off, s[0:3], s33 offset:168 ; 4-byte Folded Reload
	s_waitcnt vmcnt(0)
	v_sub_co_u32_e32 v0, vcc, v0, v10
	s_waitcnt vmcnt(0)
	v_subb_co_u32_e32 v1, vcc, v1, v11, vcc
	v_cmp_lt_i64_e32 vcc, v[2:3], v[0:1]
	v_cndmask_b32_e32 v1, v0, v2, vcc
	v_max_i32_e32 v40, 0, v1
	v_add_u32_e32 v3, 31, v40
	v_lshrrev_b32_e32 v3, 1, v3
	v_and_b32_e32 v3, 0x3ffffff0, v3
	v_cmp_lt_i32_e32 vcc, 0, v1
	v_mov_b32_e32 v0, 0
	v_max_i32_e32 v8, s47, v3
	s_and_b64 s[8:9], s[72:73], vcc
	s_and_saveexec_b64 s[28:29], s[8:9]
	s_cbranch_execz .LBB4_193
; %bb.54:                               ;   in Loop: Header=BB4_47 Depth=1
	s_mov_b32 s9, 1
	s_mov_b64 s[42:43], -1
	v_mov_b32_e32 v41, 0
	s_mov_b64 s[40:41], 0
	s_branch .LBB4_57
.LBB4_55:                               ;   in Loop: Header=BB4_57 Depth=2
	s_or_b64 exec, exec, s[76:77]
	v_add_co_u32_e32 v20, vcc, 2, v20
	v_addc_co_u32_e32 v21, vcc, 0, v21, vcc
	flat_store_dwordx2 v[22:23], v[20:21]
.LBB4_56:                               ;   in Loop: Header=BB4_57 Depth=2
	s_or_b64 exec, exec, s[26:27]
	v_add_u32_e32 v41, v8, v41
	v_cmp_ge_i32_e32 vcc, v41, v40
	s_xor_b64 s[26:27], s[42:43], -1
	s_or_b64 s[26:27], s[26:27], vcc
	s_and_b64 s[26:27], exec, s[26:27]
	s_or_b64 s[40:41], s[26:27], s[40:41]
	s_mov_b64 s[42:43], 0
	v_mov_b32_e32 v0, s9
	s_mov_b32 s9, 2
	s_andn2_b64 exec, exec, s[40:41]
	s_cbranch_execz .LBB4_192
.LBB4_57:                               ;   Parent Loop BB4_47 Depth=1
                                        ; =>  This Loop Header: Depth=2
                                        ;       Child Loop BB4_65 Depth 3
                                        ;       Child Loop BB4_89 Depth 3
	;; [unrolled: 1-line block ×9, first 2 shown]
	s_and_saveexec_b64 s[26:27], s[4:5]
	s_cbranch_execz .LBB4_59
; %bb.58:                               ;   in Loop: Header=BB4_57 Depth=2
	s_trap 2
	buffer_load_dword v2, off, s[0:3], s33 offset:84 ; 4-byte Folded Reload
	ds_read_b64 v[0:1], v0
	v_ashrrev_i32_e32 v3, 31, v41
	v_mov_b32_e32 v35, v34
	s_waitcnt vmcnt(0) lgkmcnt(0)
	v_add_co_u32_e32 v0, vcc, v0, v2
	buffer_load_dword v2, off, s[0:3], s33 offset:88 ; 4-byte Folded Reload
	s_waitcnt vmcnt(0)
	v_addc_co_u32_e32 v1, vcc, v1, v2, vcc
	v_add_co_u32_e32 v0, vcc, v0, v10
	v_addc_co_u32_e32 v1, vcc, v1, v11, vcc
	v_add_co_u32_e32 v0, vcc, v0, v41
	v_addc_co_u32_e32 v1, vcc, v1, v3, vcc
	ds_write_b64 v0, v[0:1]
	ds_write_b64 v0, v[34:35]
.LBB4_59:                               ;   in Loop: Header=BB4_57 Depth=2
	s_or_b64 exec, exec, s[26:27]
	v_sub_u32_e32 v0, v40, v41
	v_min_i32_e32 v8, v8, v0
	v_and_b32_e32 v0, 8, v59
	v_cmp_ne_u32_e32 vcc, 0, v0
	s_and_saveexec_b64 s[76:77], vcc
	s_cbranch_execz .LBB4_81
; %bb.60:                               ;   in Loop: Header=BB4_57 Depth=2
	s_waitcnt vmcnt(0) lgkmcnt(0)
	v_add_co_u32_e32 v0, vcc, 8, v32
	v_addc_co_u32_e32 v1, vcc, 0, v33, vcc
	v_add_co_u32_e32 v12, vcc, 2, v20
	v_addc_co_u32_e32 v13, vcc, 0, v21, vcc
	v_cmp_lt_u64_e32 vcc, v[0:1], v[12:13]
	s_and_saveexec_b64 s[78:79], vcc
	s_cbranch_execz .LBB4_72
; %bb.61:                               ;   in Loop: Header=BB4_57 Depth=2
	v_and_b32_e32 v0, 64, v59
	s_mov_b32 s75, 0
	v_cmp_eq_u32_e32 vcc, 0, v0
	s_mov_b64 s[88:89], 0
                                        ; implicit-def: $sgpr90_sgpr91
                                        ; implicit-def: $sgpr92_sgpr93
                                        ; implicit-def: $sgpr94_sgpr95
	s_branch .LBB4_65
.LBB4_62:                               ;   in Loop: Header=BB4_65 Depth=3
	s_waitcnt vmcnt(0) lgkmcnt(0)
	v_add_co_u32_e64 v3, s[26:27], 8, v32
	v_addc_co_u32_e64 v4, s[26:27], 0, v33, s[26:27]
	v_cmp_ge_u64_e64 s[26:27], v[3:4], v[12:13]
	s_or_b64 s[36:37], s[36:37], exec
	s_orn2_b64 s[34:35], s[26:27], exec
.LBB4_63:                               ;   in Loop: Header=BB4_65 Depth=3
	s_or_b64 exec, exec, s[48:49]
	s_andn2_b64 s[26:27], s[94:95], exec
	s_and_b64 s[94:95], s[36:37], exec
	s_or_b64 s[94:95], s[26:27], s[94:95]
	s_andn2_b64 s[26:27], s[92:93], exec
	s_and_b64 s[92:93], s[34:35], exec
	s_or_b64 s[92:93], s[26:27], s[92:93]
.LBB4_64:                               ;   in Loop: Header=BB4_65 Depth=3
	s_or_b64 exec, exec, s[30:31]
	s_and_b64 s[26:27], exec, s[92:93]
	s_or_b64 s[88:89], s[26:27], s[88:89]
	s_andn2_b64 s[26:27], s[90:91], exec
	s_and_b64 s[90:91], s[94:95], exec
	s_or_b64 s[90:91], s[26:27], s[90:91]
	s_andn2_b64 exec, exec, s[88:89]
	s_cbranch_execz .LBB4_69
.LBB4_65:                               ;   Parent Loop BB4_47 Depth=1
                                        ;     Parent Loop BB4_57 Depth=2
                                        ; =>    This Inner Loop Header: Depth=3
	s_sleep 1
	s_waitcnt vmcnt(0) lgkmcnt(0)
	flat_load_dwordx2 v[32:33], v[22:23] glc
	s_or_b64 s[94:95], s[94:95], exec
	s_or_b64 s[92:93], s[92:93], exec
                                        ; implicit-def: $vgpr0
	s_and_saveexec_b64 s[30:31], vcc
	s_cbranch_execz .LBB4_64
; %bb.66:                               ;   in Loop: Header=BB4_65 Depth=3
	s_cmpk_lt_i32 s75, 0x270f
	s_cselect_b64 s[38:39], -1, 0
	s_cmpk_gt_i32 s75, 0x270e
	s_mov_b64 s[34:35], -1
	s_cbranch_scc0 .LBB4_68
; %bb.67:                               ;   in Loop: Header=BB4_65 Depth=3
	s_trap 2
	ds_read_b64 v[0:1], v0
	s_andn2_b64 s[38:39], s[38:39], exec
	s_mov_b32 s75, 0
	s_mov_b64 s[36:37], 0
	s_waitcnt vmcnt(0) lgkmcnt(0)
	flat_load_dword v0, v[0:1] glc
	s_waitcnt vmcnt(0) lgkmcnt(0)
	buffer_wbinvl1_vol
	v_cmp_eq_u32_e64 s[26:27], 0, v0
	s_and_b64 s[26:27], s[26:27], exec
	s_or_b64 s[38:39], s[38:39], s[26:27]
	s_and_saveexec_b64 s[48:49], s[38:39]
	s_cbranch_execz .LBB4_63
	s_branch .LBB4_62
.LBB4_68:                               ;   in Loop: Header=BB4_65 Depth=3
	s_add_i32 s75, s75, 1
	s_mov_b64 s[36:37], -1
                                        ; implicit-def: $vgpr0
	s_and_saveexec_b64 s[48:49], s[38:39]
	s_cbranch_execz .LBB4_63
	s_branch .LBB4_62
.LBB4_69:                               ;   in Loop: Header=BB4_57 Depth=2
	s_or_b64 exec, exec, s[88:89]
	s_xor_b64 s[26:27], s[90:91], -1
	s_and_saveexec_b64 s[88:89], s[26:27]
	s_xor_b64 s[26:27], exec, s[88:89]
	s_cbranch_execz .LBB4_71
; %bb.70:                               ;   in Loop: Header=BB4_57 Depth=2
	v_or_b32_e32 v59, 64, v59
	s_waitcnt lgkmcnt(0)
	ds_write_b32 v0, v0
	s_trap 2
.LBB4_71:                               ;   in Loop: Header=BB4_57 Depth=2
	s_or_b64 exec, exec, s[26:27]
.LBB4_72:                               ;   in Loop: Header=BB4_57 Depth=2
	s_or_b64 exec, exec, s[78:79]
	v_and_b32_e32 v0, 0x100, v59
	v_cmp_ne_u32_e32 vcc, 0, v0
	v_and_b32_e32 v0, 7, v20
	s_mov_b64 s[26:27], -1
	;;#ASMSTART
	s_wakeup
	;;#ASMEND
                                        ; implicit-def: $vgpr14_vgpr15
	s_and_saveexec_b64 s[78:79], vcc
	s_cbranch_execz .LBB4_76
; %bb.73:                               ;   in Loop: Header=BB4_57 Depth=2
	v_mad_u64_u32 v[48:49], s[26:27], v0, 24, v[16:17]
	v_ashrrev_i32_e32 v9, 31, v8
                                        ; implicit-def: $vgpr14_vgpr15
	flat_load_dword v1, v[48:49]
	s_nop 0
	flat_store_dwordx2 v[48:49], v[8:9] offset:8
	s_waitcnt vmcnt(0) lgkmcnt(0)
	v_cmp_ne_u32_e32 vcc, 1, v1
	v_cmp_eq_u32_e64 s[26:27], 1, v1
	s_and_saveexec_b64 s[88:89], s[26:27]
	s_cbranch_execz .LBB4_75
; %bb.74:                               ;   in Loop: Header=BB4_57 Depth=2
	flat_load_dword v14, v[48:49] offset:4 glc
	s_waitcnt vmcnt(0) lgkmcnt(0)
	v_ashrrev_i32_e32 v15, 31, v14
.LBB4_75:                               ;   in Loop: Header=BB4_57 Depth=2
	s_or_b64 exec, exec, s[88:89]
	s_orn2_b64 s[26:27], vcc, exec
.LBB4_76:                               ;   in Loop: Header=BB4_57 Depth=2
	s_or_b64 exec, exec, s[78:79]
	s_and_saveexec_b64 s[78:79], s[26:27]
; %bb.77:                               ;   in Loop: Header=BB4_57 Depth=2
	v_mad_i64_i32 v[14:15], s[26:27], v0, v61, 0
; %bb.78:                               ;   in Loop: Header=BB4_57 Depth=2
	s_or_b64 exec, exec, s[78:79]
	v_add_co_u32_e32 v0, vcc, v56, v14
	v_addc_co_u32_e32 v1, vcc, v57, v15, vcc
	ds_write_b64 v0, v[0:1] offset:784
	v_and_b32_e32 v0, 0x2000, v59
	v_cmp_ne_u32_e32 vcc, 0, v0
	s_and_saveexec_b64 s[26:27], vcc
	s_cbranch_execz .LBB4_80
; %bb.79:                               ;   in Loop: Header=BB4_57 Depth=2
	ds_read_b64 v[0:1], v0 offset:872
	s_waitcnt lgkmcnt(0)
	v_add_co_u32_e32 v0, vcc, 1, v0
	v_addc_co_u32_e32 v1, vcc, 0, v1, vcc
	ds_write_b64 v0, v[0:1] offset:872
.LBB4_80:                               ;   in Loop: Header=BB4_57 Depth=2
	s_or_b64 exec, exec, s[26:27]
	v_mov_b32_e32 v21, v13
	v_mov_b32_e32 v20, v12
.LBB4_81:                               ;   in Loop: Header=BB4_57 Depth=2
	s_or_b64 exec, exec, s[76:77]
	s_and_saveexec_b64 s[26:27], s[10:11]
	s_cbranch_execz .LBB4_100
; %bb.82:                               ;   in Loop: Header=BB4_57 Depth=2
	s_and_saveexec_b64 s[76:77], s[56:57]
	s_xor_b64 s[76:77], exec, s[76:77]
	s_cbranch_execz .LBB4_97
; %bb.83:                               ;   in Loop: Header=BB4_57 Depth=2
	s_and_saveexec_b64 s[78:79], s[16:17]
	s_cbranch_execz .LBB4_96
; %bb.84:                               ;   in Loop: Header=BB4_57 Depth=2
	s_mov_b64 s[90:91], exec
	v_mbcnt_lo_u32_b32 v0, s90, 0
	v_mbcnt_hi_u32_b32 v0, s91, v0
	v_cmp_eq_u32_e32 vcc, 0, v0
	s_waitcnt vmcnt(0) lgkmcnt(0)
	buffer_wbinvl1_vol
	s_and_saveexec_b64 s[88:89], vcc
	s_cbranch_execz .LBB4_86
; %bb.85:                               ;   in Loop: Header=BB4_57 Depth=2
	s_bcnt1_i32_b64 s8, s[90:91]
	v_mov_b32_e32 v0, s8
	v_mov_b32_e32 v1, v34
	ds_add_u64 v0, v[0:1]
	s_trap 2
.LBB4_86:                               ;   in Loop: Header=BB4_57 Depth=2
	s_or_b64 exec, exec, s[88:89]
	s_trap 2
	ds_read_b64 v[0:1], v0
	s_waitcnt lgkmcnt(0)
	v_add_co_u32_e32 v28, vcc, v28, v39
	v_addc_co_u32_e32 v29, vcc, 0, v29, vcc
	v_cmp_lt_u64_e32 vcc, v[0:1], v[28:29]
	s_and_saveexec_b64 s[88:89], vcc
	s_cbranch_execz .LBB4_95
; %bb.87:                               ;   in Loop: Header=BB4_57 Depth=2
	s_mov_b32 s8, 0
	s_mov_b64 s[90:91], 0
                                        ; implicit-def: $sgpr92_sgpr93
                                        ; implicit-def: $sgpr94_sgpr95
	s_branch .LBB4_89
.LBB4_88:                               ;   in Loop: Header=BB4_89 Depth=3
	s_or_b64 exec, exec, s[34:35]
	s_and_b64 vcc, exec, vcc
	s_or_b64 s[90:91], vcc, s[90:91]
	s_andn2_b64 s[92:93], s[92:93], exec
	s_and_b64 vcc, s[94:95], exec
	s_or_b64 s[92:93], s[92:93], vcc
	s_andn2_b64 exec, exec, s[90:91]
	s_cbranch_execz .LBB4_93
.LBB4_89:                               ;   Parent Loop BB4_47 Depth=1
                                        ;     Parent Loop BB4_57 Depth=2
                                        ; =>    This Inner Loop Header: Depth=3
	s_add_i32 s8, s8, 1
	s_cmpk_lg_i32 s8, 0x2710
	s_cselect_b64 s[30:31], -1, 0
	s_and_b64 vcc, exec, s[30:31]
	s_cbranch_vccz .LBB4_91
; %bb.90:                               ;   in Loop: Header=BB4_89 Depth=3
	s_mov_b64 vcc, -1
	s_or_b64 s[94:95], s[94:95], exec
	s_and_saveexec_b64 s[34:35], s[30:31]
	s_cbranch_execz .LBB4_88
	s_branch .LBB4_92
.LBB4_91:                               ;   in Loop: Header=BB4_89 Depth=3
	s_trap 2
	ds_read_b64 v[0:1], v0
	s_andn2_b64 s[30:31], s[30:31], exec
	s_mov_b32 s8, 0
	s_waitcnt lgkmcnt(0)
	flat_load_dword v0, v[0:1] glc
	s_waitcnt vmcnt(0) lgkmcnt(0)
	buffer_wbinvl1_vol
	v_cmp_eq_u32_e32 vcc, 0, v0
	s_and_b64 vcc, vcc, exec
	s_or_b64 s[30:31], s[30:31], vcc
	s_mov_b64 vcc, -1
	s_or_b64 s[94:95], s[94:95], exec
	s_and_saveexec_b64 s[34:35], s[30:31]
	s_cbranch_execz .LBB4_88
.LBB4_92:                               ;   in Loop: Header=BB4_89 Depth=3
	s_sleep 1
	s_trap 2
	ds_read_b64 v[0:1], v0
	s_waitcnt lgkmcnt(0)
	s_andn2_b64 s[94:95], s[94:95], exec
	v_cmp_ge_u64_e32 vcc, v[0:1], v[28:29]
	s_orn2_b64 vcc, vcc, exec
	s_branch .LBB4_88
.LBB4_93:                               ;   in Loop: Header=BB4_57 Depth=2
	s_or_b64 exec, exec, s[90:91]
	s_and_saveexec_b64 s[90:91], s[92:93]
	s_xor_b64 s[90:91], exec, s[90:91]
	s_cbranch_execz .LBB4_95
; %bb.94:                               ;   in Loop: Header=BB4_57 Depth=2
	ds_write_b32 v0, v45
	s_trap 2
.LBB4_95:                               ;   in Loop: Header=BB4_57 Depth=2
	s_or_b64 exec, exec, s[88:89]
	;;#ASMSTART
	s_wakeup
	;;#ASMEND
.LBB4_96:                               ;   in Loop: Header=BB4_57 Depth=2
	s_or_b64 exec, exec, s[78:79]
.LBB4_97:                               ;   in Loop: Header=BB4_57 Depth=2
	s_andn2_saveexec_b64 s[76:77], s[76:77]
	s_cbranch_execz .LBB4_99
; %bb.98:                               ;   in Loop: Header=BB4_57 Depth=2
	s_waitcnt vmcnt(0) lgkmcnt(0)
	buffer_wbinvl1_vol
	s_barrier
.LBB4_99:                               ;   in Loop: Header=BB4_57 Depth=2
	s_or_b64 exec, exec, s[76:77]
.LBB4_100:                              ;   in Loop: Header=BB4_57 Depth=2
	s_or_b64 exec, exec, s[26:27]
	s_trap 2
	ds_read_b32 v0, v0
	v_and_b32_e32 v1, 0x4000, v59
	v_cmp_ne_u32_e32 vcc, 0, v1
	s_xor_b64 s[26:27], s[6:7], -1
	s_and_b64 s[76:77], s[26:27], vcc
	s_and_saveexec_b64 s[26:27], s[76:77]
	s_cbranch_execz .LBB4_119
; %bb.101:                              ;   in Loop: Header=BB4_57 Depth=2
	s_and_saveexec_b64 s[76:77], s[56:57]
	s_xor_b64 s[76:77], exec, s[76:77]
	s_cbranch_execz .LBB4_116
; %bb.102:                              ;   in Loop: Header=BB4_57 Depth=2
	s_and_saveexec_b64 s[78:79], s[16:17]
	s_cbranch_execz .LBB4_115
; %bb.103:                              ;   in Loop: Header=BB4_57 Depth=2
	s_mov_b64 s[90:91], exec
	v_mbcnt_lo_u32_b32 v1, s90, 0
	v_mbcnt_hi_u32_b32 v1, s91, v1
	v_cmp_eq_u32_e32 vcc, 0, v1
	s_waitcnt vmcnt(0) lgkmcnt(0)
	buffer_wbinvl1_vol
	s_and_saveexec_b64 s[88:89], vcc
	s_cbranch_execz .LBB4_105
; %bb.104:                              ;   in Loop: Header=BB4_57 Depth=2
	s_bcnt1_i32_b64 s8, s[90:91]
	v_mov_b32_e32 v3, s8
	v_mov_b32_e32 v4, v34
	ds_add_u64 v0, v[3:4]
	s_trap 2
.LBB4_105:                              ;   in Loop: Header=BB4_57 Depth=2
	s_or_b64 exec, exec, s[88:89]
	s_trap 2
	ds_read_b64 v[3:4], v0
	s_waitcnt lgkmcnt(0)
	v_add_co_u32_e32 v28, vcc, v28, v39
	v_addc_co_u32_e32 v29, vcc, 0, v29, vcc
	v_cmp_lt_u64_e32 vcc, v[3:4], v[28:29]
	s_and_saveexec_b64 s[88:89], vcc
	s_cbranch_execz .LBB4_114
; %bb.106:                              ;   in Loop: Header=BB4_57 Depth=2
	s_mov_b32 s8, 0
	s_mov_b64 s[90:91], 0
                                        ; implicit-def: $sgpr92_sgpr93
                                        ; implicit-def: $sgpr94_sgpr95
	s_branch .LBB4_108
.LBB4_107:                              ;   in Loop: Header=BB4_108 Depth=3
	s_or_b64 exec, exec, s[34:35]
	s_and_b64 vcc, exec, vcc
	s_or_b64 s[90:91], vcc, s[90:91]
	s_andn2_b64 s[92:93], s[92:93], exec
	s_and_b64 vcc, s[94:95], exec
	s_or_b64 s[92:93], s[92:93], vcc
	s_andn2_b64 exec, exec, s[90:91]
	s_cbranch_execz .LBB4_112
.LBB4_108:                              ;   Parent Loop BB4_47 Depth=1
                                        ;     Parent Loop BB4_57 Depth=2
                                        ; =>    This Inner Loop Header: Depth=3
	s_add_i32 s8, s8, 1
	s_cmpk_lg_i32 s8, 0x2710
	s_cselect_b64 s[30:31], -1, 0
	s_and_b64 vcc, exec, s[30:31]
	s_cbranch_vccz .LBB4_110
; %bb.109:                              ;   in Loop: Header=BB4_108 Depth=3
	s_mov_b64 vcc, -1
	s_or_b64 s[94:95], s[94:95], exec
	s_and_saveexec_b64 s[34:35], s[30:31]
	s_cbranch_execz .LBB4_107
	s_branch .LBB4_111
.LBB4_110:                              ;   in Loop: Header=BB4_108 Depth=3
	s_trap 2
	ds_read_b64 v[3:4], v0
	s_andn2_b64 s[30:31], s[30:31], exec
	s_mov_b32 s8, 0
	s_waitcnt lgkmcnt(0)
	flat_load_dword v1, v[3:4] glc
	s_waitcnt vmcnt(0) lgkmcnt(0)
	buffer_wbinvl1_vol
	v_cmp_eq_u32_e32 vcc, 0, v1
	s_and_b64 vcc, vcc, exec
	s_or_b64 s[30:31], s[30:31], vcc
	s_mov_b64 vcc, -1
	s_or_b64 s[94:95], s[94:95], exec
	s_and_saveexec_b64 s[34:35], s[30:31]
	s_cbranch_execz .LBB4_107
.LBB4_111:                              ;   in Loop: Header=BB4_108 Depth=3
	s_sleep 1
	s_trap 2
	ds_read_b64 v[3:4], v0
	s_waitcnt lgkmcnt(0)
	s_andn2_b64 s[94:95], s[94:95], exec
	v_cmp_ge_u64_e32 vcc, v[3:4], v[28:29]
	s_orn2_b64 vcc, vcc, exec
	s_branch .LBB4_107
.LBB4_112:                              ;   in Loop: Header=BB4_57 Depth=2
	s_or_b64 exec, exec, s[90:91]
	s_and_saveexec_b64 s[90:91], s[92:93]
	s_xor_b64 s[90:91], exec, s[90:91]
	s_cbranch_execz .LBB4_114
; %bb.113:                              ;   in Loop: Header=BB4_57 Depth=2
	ds_write_b32 v0, v45
	s_trap 2
.LBB4_114:                              ;   in Loop: Header=BB4_57 Depth=2
	s_or_b64 exec, exec, s[88:89]
	;;#ASMSTART
	s_wakeup
	;;#ASMEND
.LBB4_115:                              ;   in Loop: Header=BB4_57 Depth=2
	s_or_b64 exec, exec, s[78:79]
.LBB4_116:                              ;   in Loop: Header=BB4_57 Depth=2
	s_andn2_saveexec_b64 s[76:77], s[76:77]
	s_cbranch_execz .LBB4_118
; %bb.117:                              ;   in Loop: Header=BB4_57 Depth=2
	s_waitcnt vmcnt(0) lgkmcnt(0)
	buffer_wbinvl1_vol
	s_barrier
.LBB4_118:                              ;   in Loop: Header=BB4_57 Depth=2
	s_or_b64 exec, exec, s[76:77]
.LBB4_119:                              ;   in Loop: Header=BB4_57 Depth=2
	s_or_b64 exec, exec, s[26:27]
	s_trap 2
	s_waitcnt lgkmcnt(0)
	ds_read_b64 v[12:13], v0
	s_waitcnt lgkmcnt(0)
	v_cmp_eq_u64_e32 vcc, 0, v[12:13]
	s_cbranch_vccnz .LBB4_127
; %bb.120:                              ;   in Loop: Header=BB4_57 Depth=2
	s_trap 2
	ds_read_b64 v[14:15], v0
	s_waitcnt lgkmcnt(0)
	v_cmp_eq_u64_e32 vcc, 0, v[14:15]
	s_cbranch_vccnz .LBB4_127
; %bb.121:                              ;   in Loop: Header=BB4_57 Depth=2
	s_mov_b64 s[26:27], -1
	s_and_saveexec_b64 s[76:77], s[18:19]
	s_cbranch_execz .LBB4_123
; %bb.122:                              ;   in Loop: Header=BB4_57 Depth=2
	ds_read_b32 v1, v0 offset:720
	s_waitcnt lgkmcnt(0)
	v_and_b32_e32 v1, 15, v1
	v_cmp_eq_u32_e32 vcc, 0, v1
	s_orn2_b64 s[26:27], vcc, exec
.LBB4_123:                              ;   in Loop: Header=BB4_57 Depth=2
	s_or_b64 exec, exec, s[76:77]
	s_and_saveexec_b64 s[76:77], s[20:21]
	s_cbranch_execz .LBB4_125
; %bb.124:                              ;   in Loop: Header=BB4_57 Depth=2
	ds_read_b32 v1, v0 offset:784
	s_waitcnt lgkmcnt(0)
	v_and_b32_e32 v1, 15, v1
	v_cmp_eq_u32_e32 vcc, 0, v1
	s_and_b64 s[78:79], s[26:27], vcc
	s_andn2_b64 s[26:27], s[26:27], exec
	s_and_b64 s[78:79], s[78:79], exec
	s_or_b64 s[26:27], s[26:27], s[78:79]
.LBB4_125:                              ;   in Loop: Header=BB4_57 Depth=2
	s_or_b64 exec, exec, s[76:77]
	v_cmp_eq_u32_e32 vcc, 0, v0
	s_xor_b64 s[26:27], s[26:27], -1
	v_cndmask_b32_e32 v0, 0, v8, vcc
	v_cndmask_b32_e64 v1, 0, 1, s[26:27]
	s_mov_b64 s[78:79], -1
	v_cmp_ne_u32_e32 vcc, 0, v1
	v_mov_b32_e32 v1, 0
	v_mov_b32_e32 v3, v0
	;; [unrolled: 1-line block ×3, first 2 shown]
	s_cbranch_vccz .LBB4_133
; %bb.126:                              ;   in Loop: Header=BB4_57 Depth=2
	s_and_saveexec_b64 s[26:27], s[78:79]
	s_cbranch_execnz .LBB4_144
	s_branch .LBB4_152
.LBB4_127:                              ;   in Loop: Header=BB4_57 Depth=2
	s_mov_b64 s[26:27], 0
	s_and_saveexec_b64 s[76:77], s[10:11]
	s_cbranch_execnz .LBB4_153
.LBB4_128:                              ;   in Loop: Header=BB4_57 Depth=2
	s_or_b64 exec, exec, s[76:77]
                                        ; implicit-def: $vgpr0
	s_and_saveexec_b64 s[76:77], s[24:25]
	s_xor_b64 s[76:77], exec, s[76:77]
	s_cbranch_execz .LBB4_171
.LBB4_129:                              ;   in Loop: Header=BB4_57 Depth=2
	v_and_b32_e32 v1, 16, v59
	v_cmp_ne_u32_e32 vcc, 0, v1
	v_and_b32_e32 v0, 16, v59
	s_and_b64 s[78:79], vcc, s[26:27]
	s_and_saveexec_b64 s[26:27], s[78:79]
	s_cbranch_execz .LBB4_131
; %bb.130:                              ;   in Loop: Header=BB4_57 Depth=2
	v_mov_b32_e32 v0, 1
	s_waitcnt vmcnt(0) lgkmcnt(0)
	buffer_wbinvl1_vol
.LBB4_131:                              ;   in Loop: Header=BB4_57 Depth=2
	s_or_b64 exec, exec, s[26:27]
	s_andn2_saveexec_b64 s[26:27], s[76:77]
	s_cbranch_execnz .LBB4_172
.LBB4_132:                              ;   in Loop: Header=BB4_57 Depth=2
	s_or_b64 exec, exec, s[26:27]
	v_cmp_ne_u32_e32 vcc, 0, v0
	s_and_saveexec_b64 s[26:27], vcc
	s_cbranch_execz .LBB4_56
	s_branch .LBB4_190
.LBB4_133:                              ;   in Loop: Header=BB4_57 Depth=2
	buffer_load_dword v2, off, s[0:3], s33 offset:124 ; 4-byte Folded Reload
	v_ashrrev_i32_e32 v1, 31, v0
	v_lshrrev_b32_e32 v1, 20, v1
	v_add_u32_e32 v1, v0, v1
	v_ashrrev_i32_e32 v1, 12, v1
	s_waitcnt vmcnt(0)
	v_sub_u32_e32 v9, v1, v2
	v_cmp_lt_i32_e32 vcc, 0, v9
	s_and_saveexec_b64 s[26:27], vcc
	s_cbranch_execz .LBB4_137
; %bb.134:                              ;   in Loop: Header=BB4_57 Depth=2
	buffer_load_dword v2, off, s[0:3], s33 offset:196 ; 4-byte Folded Reload
	buffer_load_dword v7, off, s[0:3], s33 offset:148 ; 4-byte Folded Reload
	v_mov_b32_e32 v53, v15
	v_mov_b32_e32 v55, v13
	s_mov_b64 s[76:77], 0
	v_mov_b32_e32 v52, v14
	v_mov_b32_e32 v54, v12
.LBB4_135:                              ;   Parent Loop BB4_47 Depth=1
                                        ;     Parent Loop BB4_57 Depth=2
                                        ; =>    This Inner Loop Header: Depth=3
	s_waitcnt vmcnt(0)
	v_add_co_u32_e32 v24, vcc, v7, v54
	v_addc_co_u32_e32 v25, vcc, 0, v55, vcc
	global_load_dwordx4 v[42:45], v[24:25], off glc slc
	global_load_dwordx4 v[3:6], v[24:25], off offset:1024 glc slc
	global_load_dwordx4 v[35:38], v[24:25], off offset:2048 glc slc
	s_nop 0
	global_load_dwordx4 v[24:27], v[24:25], off offset:3072 glc slc
	v_add_co_u32_e32 v30, vcc, v7, v52
	v_addc_co_u32_e32 v31, vcc, 0, v53, vcc
	v_add_co_u32_e32 v54, vcc, v54, v2
	v_addc_co_u32_e32 v55, vcc, 0, v55, vcc
	v_add_co_u32_e32 v52, vcc, v52, v2
	v_sub_u32_e32 v9, v9, v39
	v_addc_co_u32_e32 v53, vcc, 0, v53, vcc
	v_cmp_gt_i32_e32 vcc, 1, v9
	s_or_b64 s[76:77], vcc, s[76:77]
	s_waitcnt vmcnt(3)
	global_store_dwordx4 v[30:31], v[42:45], off glc slc
	s_waitcnt vmcnt(3)
	global_store_dwordx4 v[30:31], v[3:6], off offset:1024 glc slc
	s_waitcnt vmcnt(3)
	global_store_dwordx4 v[30:31], v[35:38], off offset:2048 glc slc
	;; [unrolled: 2-line block ×3, first 2 shown]
	s_andn2_b64 exec, exec, s[76:77]
	s_cbranch_execnz .LBB4_135
; %bb.136:                              ;   in Loop: Header=BB4_57 Depth=2
	s_or_b64 exec, exec, s[76:77]
	buffer_load_dword v16, off, s[0:3], s33 offset:92 ; 4-byte Folded Reload
	buffer_load_dword v17, off, s[0:3], s33 offset:96 ; 4-byte Folded Reload
	;; [unrolled: 1-line block ×8, first 2 shown]
	v_mov_b32_e32 v45, 1
	v_mov_b32_e32 v50, 0xc8
	;; [unrolled: 1-line block ×3, first 2 shown]
.LBB4_137:                              ;   in Loop: Header=BB4_57 Depth=2
	s_or_b64 exec, exec, s[26:27]
	v_lshlrev_b32_e32 v5, 12, v1
	v_cmp_ne_u32_e32 vcc, v0, v5
	s_mov_b64 s[78:79], 0
	v_mov_b32_e32 v1, 0
                                        ; implicit-def: $vgpr3
                                        ; implicit-def: $vgpr4
	s_and_saveexec_b64 s[76:77], vcc
	s_cbranch_execz .LBB4_143
; %bb.138:                              ;   in Loop: Header=BB4_57 Depth=2
	buffer_load_dword v2, off, s[0:3], s33 offset:160 ; 4-byte Folded Reload
	v_lshlrev_b32_e32 v1, 6, v9
	v_sub_u32_e32 v3, v0, v5
	s_waitcnt vmcnt(0)
	v_sub_u32_e32 v1, v2, v1
	v_ashrrev_i32_e32 v4, 31, v1
	v_lshrrev_b32_e32 v4, 26, v4
	v_add_u32_e32 v4, v1, v4
	v_ashrrev_i32_e32 v6, 6, v4
	v_and_b32_e32 v4, 0xffffffc0, v4
	v_sub_u32_e32 v4, v1, v4
	v_lshlrev_b32_e32 v1, 4, v4
	v_lshl_add_u32 v30, v6, 10, v1
	v_ashrrev_i32_e32 v1, 31, v3
	v_lshrrev_b32_e32 v1, 22, v1
	v_add_u32_e32 v1, v3, v1
	v_ashrrev_i32_e32 v9, 10, v1
	v_and_b32_e32 v1, 0xfffffc00, v1
	v_sub_u32_e32 v19, v3, v30
	v_sub_u32_e32 v3, v3, v1
	v_cmp_lt_i32_e32 vcc, 15, v3
	v_addc_co_u32_e64 v9, s[26:27], 0, v9, vcc
	v_sub_u32_e32 v9, v9, v6
	v_cmp_lt_i32_e64 s[26:27], 15, v19
	s_and_saveexec_b64 s[78:79], s[26:27]
	s_cbranch_execz .LBB4_142
; %bb.139:                              ;   in Loop: Header=BB4_57 Depth=2
	v_add_u32_e32 v30, v30, v5
	v_ashrrev_i32_e32 v31, 31, v30
	s_mov_b64 s[88:89], 0
.LBB4_140:                              ;   Parent Loop BB4_47 Depth=1
                                        ;     Parent Loop BB4_57 Depth=2
                                        ; =>    This Inner Loop Header: Depth=3
	v_add_co_u32_e64 v24, s[26:27], v12, v30
	v_addc_co_u32_e64 v25, s[26:27], v13, v31, s[26:27]
	global_load_dwordx4 v[24:27], v[24:25], off glc slc
	v_add_co_u32_e64 v35, s[26:27], v14, v30
	v_addc_co_u32_e64 v36, s[26:27], v15, v31, s[26:27]
	v_add_co_u32_e64 v30, s[26:27], v30, v51
	v_sub_u32_e32 v19, v19, v51
	v_addc_co_u32_e64 v31, s[26:27], 0, v31, s[26:27]
	v_cmp_gt_i32_e64 s[26:27], 16, v19
	v_sub_u32_e32 v9, v9, v39
	s_or_b64 s[88:89], s[26:27], s[88:89]
	s_waitcnt vmcnt(0)
	global_store_dwordx4 v[35:36], v[24:27], off glc slc
	s_andn2_b64 exec, exec, s[88:89]
	s_cbranch_execnz .LBB4_140
; %bb.141:                              ;   in Loop: Header=BB4_57 Depth=2
	s_or_b64 exec, exec, s[88:89]
	buffer_load_dword v16, off, s[0:3], s33 offset:92 ; 4-byte Folded Reload
	buffer_load_dword v17, off, s[0:3], s33 offset:96 ; 4-byte Folded Reload
	;; [unrolled: 1-line block ×6, first 2 shown]
.LBB4_142:                              ;   in Loop: Header=BB4_57 Depth=2
	s_or_b64 exec, exec, s[78:79]
	buffer_load_dword v30, off, s[0:3], s33 offset:68 ; 4-byte Folded Reload
	v_and_b32_e32 v6, 15, v0
	s_waitcnt vmcnt(3)
	v_sub_u32_e32 v19, v3, v6
	v_cndmask_b32_e32 v19, 0, v19, vcc
	v_cndmask_b32_e32 v3, v3, v6, vcc
	v_cmp_lt_i32_e32 vcc, 0, v9
	v_add3_u32 v1, v1, v5, v19
	v_cndmask_b32_e32 v5, 0, v39, vcc
	v_sub_u32_e32 v5, v5, v9
	v_cmp_ne_u32_e32 vcc, 0, v3
	v_lshl_add_u32 v4, v5, 6, v4
	s_and_b64 s[78:79], vcc, exec
.LBB4_143:                              ;   in Loop: Header=BB4_57 Depth=2
	s_or_b64 exec, exec, s[76:77]
	s_and_saveexec_b64 s[26:27], s[78:79]
	s_cbranch_execz .LBB4_152
.LBB4_144:                              ;   in Loop: Header=BB4_57 Depth=2
	v_ashrrev_i32_e32 v5, 31, v4
	v_ashrrev_i32_e32 v6, 31, v3
	v_lshrrev_b32_e32 v5, 26, v5
	v_lshrrev_b32_e32 v6, 22, v6
	s_waitcnt vmcnt(0)
	v_add_u32_e32 v30, v4, v5
	v_add_u32_e32 v6, v3, v6
	v_ashrrev_i32_e32 v5, 6, v30
	v_ashrrev_i32_e32 v19, 10, v6
	v_sub_u32_e32 v9, v19, v5
	v_cmp_lt_i32_e32 vcc, 0, v9
	s_and_saveexec_b64 s[76:77], vcc
	s_cbranch_execz .LBB4_148
; %bb.145:                              ;   in Loop: Header=BB4_57 Depth=2
	v_and_b32_e32 v6, 0xffffffc0, v30
	v_sub_u32_e32 v6, v4, v6
	v_lshlrev_b32_e32 v24, 10, v5
	v_add3_u32 v30, v1, v6, v24
	v_ashrrev_i32_e32 v31, 31, v30
	s_mov_b64 s[78:79], 0
	v_mov_b32_e32 v2, v39
	v_mov_b32_e32 v7, v51
.LBB4_146:                              ;   Parent Loop BB4_47 Depth=1
                                        ;     Parent Loop BB4_57 Depth=2
                                        ; =>    This Inner Loop Header: Depth=3
	v_add_co_u32_e32 v24, vcc, v30, v12
	v_addc_co_u32_e32 v25, vcc, v31, v13, vcc
	flat_load_ubyte v6, v[24:25] glc slc
	flat_load_ubyte v26, v[24:25] offset:64 glc slc
	flat_load_ubyte v27, v[24:25] offset:128 glc slc
	;; [unrolled: 1-line block ×15, first 2 shown]
	v_add_co_u32_e32 v24, vcc, v30, v14
	v_addc_co_u32_e32 v25, vcc, v31, v15, vcc
	v_add_co_u32_e32 v12, vcc, v12, v7
	v_addc_co_u32_e32 v13, vcc, 0, v13, vcc
	v_add_co_u32_e32 v14, vcc, v14, v7
	v_sub_u32_e32 v9, v9, v2
	v_addc_co_u32_e32 v15, vcc, 0, v15, vcc
	v_cmp_gt_i32_e32 vcc, 1, v9
	s_or_b64 s[78:79], vcc, s[78:79]
	s_waitcnt vmcnt(0) lgkmcnt(0)
	flat_store_byte v[24:25], v6 glc slc
	flat_store_byte v[24:25], v26 offset:64 glc slc
	flat_store_byte v[24:25], v27 offset:128 glc slc
	;; [unrolled: 1-line block ×15, first 2 shown]
	s_andn2_b64 exec, exec, s[78:79]
	s_cbranch_execnz .LBB4_146
; %bb.147:                              ;   in Loop: Header=BB4_57 Depth=2
	s_or_b64 exec, exec, s[78:79]
	buffer_load_dword v12, off, s[0:3], s33 offset:92 ; 4-byte Folded Reload
	buffer_load_dword v13, off, s[0:3], s33 offset:96 ; 4-byte Folded Reload
	;; [unrolled: 1-line block ×7, first 2 shown]
	v_mov_b32_e32 v39, v2
	v_mov_b32_e32 v51, v7
	;; [unrolled: 1-line block ×4, first 2 shown]
	s_waitcnt vmcnt(0)
	v_mov_b32_e32 v17, v13
	v_mov_b32_e32 v16, v12
.LBB4_148:                              ;   in Loop: Header=BB4_57 Depth=2
	s_or_b64 exec, exec, s[76:77]
	buffer_load_dword v30, off, s[0:3], s33 offset:68 ; 4-byte Folded Reload
	v_lshlrev_b32_e32 v12, 10, v19
	v_cmp_ne_u32_e32 vcc, v3, v12
	s_and_b64 s[76:77], exec, vcc
	s_mov_b64 exec, s[76:77]
	s_cbranch_execz .LBB4_152
; %bb.149:                              ;   in Loop: Header=BB4_57 Depth=2
	v_lshlrev_b32_e32 v5, 6, v5
	v_sub_u32_e32 v4, v4, v5
	v_lshlrev_b32_e32 v5, 6, v9
	v_sub_u32_e32 v4, v4, v5
	v_add_u32_e32 v4, v12, v4
	v_sub_u32_e32 v3, v3, v4
	v_cmp_lt_i32_e32 vcc, 0, v3
	s_and_b64 exec, exec, vcc
	s_cbranch_execz .LBB4_152
; %bb.150:                              ;   in Loop: Header=BB4_57 Depth=2
	s_trap 2
	ds_read_b64 v[12:13], v0
	v_add_u32_e32 v1, v4, v1
	v_ashrrev_i32_e32 v4, 31, v1
	s_mov_b64 s[76:77], 0
.LBB4_151:                              ;   Parent Loop BB4_47 Depth=1
                                        ;     Parent Loop BB4_57 Depth=2
                                        ; =>    This Inner Loop Header: Depth=3
	s_waitcnt lgkmcnt(0)
	v_add_co_u32_e32 v5, vcc, v12, v1
	v_addc_co_u32_e32 v6, vcc, v13, v4, vcc
	flat_load_ubyte v9, v[5:6] glc slc
	v_add_co_u32_e32 v1, vcc, v1, v31
	v_sub_u32_e32 v3, v3, v31
	v_addc_co_u32_e32 v4, vcc, 0, v4, vcc
	v_cmp_gt_i32_e32 vcc, 1, v3
	s_or_b64 s[76:77], vcc, s[76:77]
	s_waitcnt vmcnt(0) lgkmcnt(0)
	flat_store_byte v[5:6], v9 glc slc
	s_andn2_b64 exec, exec, s[76:77]
	s_cbranch_execnz .LBB4_151
.LBB4_152:                              ;   in Loop: Header=BB4_57 Depth=2
	s_or_b64 exec, exec, s[26:27]
	v_cmp_lt_i32_e64 s[26:27], 0, v0
	s_and_saveexec_b64 s[76:77], s[10:11]
	s_cbranch_execz .LBB4_128
.LBB4_153:                              ;   in Loop: Header=BB4_57 Depth=2
	s_and_saveexec_b64 s[78:79], s[56:57]
	s_xor_b64 s[78:79], exec, s[78:79]
	s_cbranch_execz .LBB4_168
; %bb.154:                              ;   in Loop: Header=BB4_57 Depth=2
	s_and_saveexec_b64 s[88:89], s[16:17]
	s_cbranch_execz .LBB4_167
; %bb.155:                              ;   in Loop: Header=BB4_57 Depth=2
	s_mov_b64 s[92:93], exec
	v_mbcnt_lo_u32_b32 v0, s92, 0
	v_mbcnt_hi_u32_b32 v0, s93, v0
	v_cmp_eq_u32_e32 vcc, 0, v0
	s_waitcnt vmcnt(0) lgkmcnt(0)
	buffer_wbinvl1_vol
	s_and_saveexec_b64 s[90:91], vcc
	s_cbranch_execz .LBB4_157
; %bb.156:                              ;   in Loop: Header=BB4_57 Depth=2
	s_bcnt1_i32_b64 s8, s[92:93]
	v_mov_b32_e32 v0, s8
	v_mov_b32_e32 v1, v34
	ds_add_u64 v0, v[0:1]
	s_trap 2
.LBB4_157:                              ;   in Loop: Header=BB4_57 Depth=2
	s_or_b64 exec, exec, s[90:91]
	s_trap 2
	ds_read_b64 v[0:1], v0
	s_waitcnt lgkmcnt(0)
	v_add_co_u32_e32 v28, vcc, v28, v39
	v_addc_co_u32_e32 v29, vcc, 0, v29, vcc
	v_cmp_lt_u64_e32 vcc, v[0:1], v[28:29]
	s_and_saveexec_b64 s[90:91], vcc
	s_cbranch_execz .LBB4_166
; %bb.158:                              ;   in Loop: Header=BB4_57 Depth=2
	s_mov_b32 s8, 0
	s_mov_b64 s[92:93], 0
                                        ; implicit-def: $sgpr94_sgpr95
                                        ; implicit-def: $sgpr30_sgpr31
	s_branch .LBB4_160
.LBB4_159:                              ;   in Loop: Header=BB4_160 Depth=3
	s_or_b64 exec, exec, s[36:37]
	s_and_b64 vcc, exec, vcc
	s_or_b64 s[92:93], vcc, s[92:93]
	s_andn2_b64 s[94:95], s[94:95], exec
	s_and_b64 vcc, s[30:31], exec
	s_or_b64 s[94:95], s[94:95], vcc
	s_andn2_b64 exec, exec, s[92:93]
	s_cbranch_execz .LBB4_164
.LBB4_160:                              ;   Parent Loop BB4_47 Depth=1
                                        ;     Parent Loop BB4_57 Depth=2
                                        ; =>    This Inner Loop Header: Depth=3
	s_add_i32 s8, s8, 1
	s_cmpk_lg_i32 s8, 0x2710
	s_cselect_b64 s[34:35], -1, 0
	s_and_b64 vcc, exec, s[34:35]
	s_cbranch_vccz .LBB4_162
; %bb.161:                              ;   in Loop: Header=BB4_160 Depth=3
	s_mov_b64 vcc, -1
	s_or_b64 s[30:31], s[30:31], exec
	s_and_saveexec_b64 s[36:37], s[34:35]
	s_cbranch_execz .LBB4_159
	s_branch .LBB4_163
.LBB4_162:                              ;   in Loop: Header=BB4_160 Depth=3
	s_trap 2
	ds_read_b64 v[0:1], v0
	s_andn2_b64 s[34:35], s[34:35], exec
	s_mov_b32 s8, 0
	s_waitcnt lgkmcnt(0)
	flat_load_dword v0, v[0:1] glc
	s_waitcnt vmcnt(0) lgkmcnt(0)
	buffer_wbinvl1_vol
	v_cmp_eq_u32_e32 vcc, 0, v0
	s_and_b64 vcc, vcc, exec
	s_or_b64 s[34:35], s[34:35], vcc
	s_mov_b64 vcc, -1
	s_or_b64 s[30:31], s[30:31], exec
	s_and_saveexec_b64 s[36:37], s[34:35]
	s_cbranch_execz .LBB4_159
.LBB4_163:                              ;   in Loop: Header=BB4_160 Depth=3
	s_sleep 1
	s_trap 2
	ds_read_b64 v[0:1], v0
	s_waitcnt lgkmcnt(0)
	s_andn2_b64 s[30:31], s[30:31], exec
	v_cmp_ge_u64_e32 vcc, v[0:1], v[28:29]
	s_orn2_b64 vcc, vcc, exec
	s_branch .LBB4_159
.LBB4_164:                              ;   in Loop: Header=BB4_57 Depth=2
	s_or_b64 exec, exec, s[92:93]
	s_and_saveexec_b64 s[92:93], s[94:95]
	s_xor_b64 s[92:93], exec, s[92:93]
	s_cbranch_execz .LBB4_166
; %bb.165:                              ;   in Loop: Header=BB4_57 Depth=2
	ds_write_b32 v0, v45
	s_trap 2
.LBB4_166:                              ;   in Loop: Header=BB4_57 Depth=2
	s_or_b64 exec, exec, s[90:91]
	;;#ASMSTART
	s_wakeup
	;;#ASMEND
.LBB4_167:                              ;   in Loop: Header=BB4_57 Depth=2
	s_or_b64 exec, exec, s[88:89]
.LBB4_168:                              ;   in Loop: Header=BB4_57 Depth=2
	s_andn2_saveexec_b64 s[78:79], s[78:79]
	s_cbranch_execz .LBB4_170
; %bb.169:                              ;   in Loop: Header=BB4_57 Depth=2
	s_waitcnt vmcnt(0) lgkmcnt(0)
	buffer_wbinvl1_vol
	s_barrier
.LBB4_170:                              ;   in Loop: Header=BB4_57 Depth=2
	s_or_b64 exec, exec, s[78:79]
	s_or_b64 exec, exec, s[76:77]
                                        ; implicit-def: $vgpr0
	s_and_saveexec_b64 s[76:77], s[24:25]
	s_xor_b64 s[76:77], exec, s[76:77]
	s_cbranch_execnz .LBB4_129
.LBB4_171:                              ;   in Loop: Header=BB4_57 Depth=2
	s_andn2_saveexec_b64 s[26:27], s[76:77]
	s_cbranch_execz .LBB4_132
.LBB4_172:                              ;   in Loop: Header=BB4_57 Depth=2
	s_and_saveexec_b64 s[76:77], s[56:57]
	s_xor_b64 s[76:77], exec, s[76:77]
	s_cbranch_execz .LBB4_187
; %bb.173:                              ;   in Loop: Header=BB4_57 Depth=2
	s_and_saveexec_b64 s[78:79], s[16:17]
	s_cbranch_execz .LBB4_186
; %bb.174:                              ;   in Loop: Header=BB4_57 Depth=2
	s_mov_b64 s[90:91], exec
	v_mbcnt_lo_u32_b32 v0, s90, 0
	v_mbcnt_hi_u32_b32 v0, s91, v0
	v_cmp_eq_u32_e32 vcc, 0, v0
	;;#ASMSTART
	s_waitcnt lgkmcnt(0) vmcnt(0)
	;;#ASMEND
	s_and_saveexec_b64 s[88:89], vcc
	s_cbranch_execz .LBB4_176
; %bb.175:                              ;   in Loop: Header=BB4_57 Depth=2
	s_bcnt1_i32_b64 s8, s[90:91]
	v_mov_b32_e32 v0, s8
	v_mov_b32_e32 v1, v34
	s_waitcnt lgkmcnt(0)
	ds_add_u64 v0, v[0:1]
	s_trap 2
.LBB4_176:                              ;   in Loop: Header=BB4_57 Depth=2
	s_or_b64 exec, exec, s[88:89]
	s_trap 2
	ds_read_b64 v[0:1], v0
	s_waitcnt lgkmcnt(0)
	v_add_co_u32_e32 v28, vcc, v28, v39
	v_addc_co_u32_e32 v29, vcc, 0, v29, vcc
	v_cmp_lt_u64_e32 vcc, v[0:1], v[28:29]
	s_and_saveexec_b64 s[88:89], vcc
	s_cbranch_execz .LBB4_185
; %bb.177:                              ;   in Loop: Header=BB4_57 Depth=2
	s_mov_b32 s8, 0
	s_mov_b64 s[90:91], 0
                                        ; implicit-def: $sgpr92_sgpr93
                                        ; implicit-def: $sgpr94_sgpr95
	s_branch .LBB4_179
.LBB4_178:                              ;   in Loop: Header=BB4_179 Depth=3
	s_or_b64 exec, exec, s[34:35]
	s_and_b64 vcc, exec, vcc
	s_or_b64 s[90:91], vcc, s[90:91]
	s_andn2_b64 s[92:93], s[92:93], exec
	s_and_b64 vcc, s[94:95], exec
	s_or_b64 s[92:93], s[92:93], vcc
	s_andn2_b64 exec, exec, s[90:91]
	s_cbranch_execz .LBB4_183
.LBB4_179:                              ;   Parent Loop BB4_47 Depth=1
                                        ;     Parent Loop BB4_57 Depth=2
                                        ; =>    This Inner Loop Header: Depth=3
	s_add_i32 s8, s8, 1
	s_cmpk_lg_i32 s8, 0x2710
	s_cselect_b64 s[30:31], -1, 0
	s_and_b64 vcc, exec, s[30:31]
	s_cbranch_vccz .LBB4_181
; %bb.180:                              ;   in Loop: Header=BB4_179 Depth=3
	s_mov_b64 vcc, -1
	s_or_b64 s[94:95], s[94:95], exec
	s_and_saveexec_b64 s[34:35], s[30:31]
	s_cbranch_execz .LBB4_178
	s_branch .LBB4_182
.LBB4_181:                              ;   in Loop: Header=BB4_179 Depth=3
	s_trap 2
	ds_read_b64 v[0:1], v0
	s_andn2_b64 s[30:31], s[30:31], exec
	s_mov_b32 s8, 0
	s_waitcnt vmcnt(0) lgkmcnt(0)
	flat_load_dword v0, v[0:1] glc
	s_waitcnt vmcnt(0) lgkmcnt(0)
	buffer_wbinvl1_vol
	v_cmp_eq_u32_e32 vcc, 0, v0
	s_and_b64 vcc, vcc, exec
	s_or_b64 s[30:31], s[30:31], vcc
	s_mov_b64 vcc, -1
	s_or_b64 s[94:95], s[94:95], exec
	s_and_saveexec_b64 s[34:35], s[30:31]
	s_cbranch_execz .LBB4_178
.LBB4_182:                              ;   in Loop: Header=BB4_179 Depth=3
	s_sleep 1
	s_trap 2
	ds_read_b64 v[0:1], v0
	s_waitcnt lgkmcnt(0)
	s_andn2_b64 s[94:95], s[94:95], exec
	v_cmp_ge_u64_e32 vcc, v[0:1], v[28:29]
	s_orn2_b64 vcc, vcc, exec
	s_branch .LBB4_178
.LBB4_183:                              ;   in Loop: Header=BB4_57 Depth=2
	s_or_b64 exec, exec, s[90:91]
	s_and_saveexec_b64 s[90:91], s[92:93]
	s_xor_b64 s[90:91], exec, s[90:91]
	s_cbranch_execz .LBB4_185
; %bb.184:                              ;   in Loop: Header=BB4_57 Depth=2
	ds_write_b32 v0, v45
	s_trap 2
.LBB4_185:                              ;   in Loop: Header=BB4_57 Depth=2
	s_or_b64 exec, exec, s[88:89]
	;;#ASMSTART
	s_wakeup
	;;#ASMEND
.LBB4_186:                              ;   in Loop: Header=BB4_57 Depth=2
	s_or_b64 exec, exec, s[78:79]
.LBB4_187:                              ;   in Loop: Header=BB4_57 Depth=2
	s_andn2_saveexec_b64 s[76:77], s[76:77]
	s_cbranch_execz .LBB4_189
; %bb.188:                              ;   in Loop: Header=BB4_57 Depth=2
	;;#ASMSTART
	s_waitcnt lgkmcnt(0) vmcnt(0)
	;;#ASMEND
	s_waitcnt vmcnt(0) lgkmcnt(0)
	s_barrier
.LBB4_189:                              ;   in Loop: Header=BB4_57 Depth=2
	s_or_b64 exec, exec, s[76:77]
	v_and_b32_e32 v0, 16, v59
	s_or_b64 exec, exec, s[26:27]
	v_cmp_ne_u32_e32 vcc, 0, v0
	s_and_saveexec_b64 s[26:27], vcc
	s_cbranch_execz .LBB4_56
.LBB4_190:                              ;   in Loop: Header=BB4_57 Depth=2
	s_and_saveexec_b64 s[76:77], s[14:15]
	s_cbranch_execz .LBB4_55
; %bb.191:                              ;   in Loop: Header=BB4_57 Depth=2
	flat_store_dword v[46:47], v45
	s_branch .LBB4_55
.LBB4_192:                              ;   in Loop: Header=BB4_47 Depth=1
	s_or_b64 exec, exec, s[40:41]
.LBB4_193:                              ;   in Loop: Header=BB4_47 Depth=1
	s_or_b64 exec, exec, s[28:29]
	v_cmp_gt_i32_e32 vcc, 2, v0
	s_and_saveexec_b64 s[28:29], vcc
	s_cbranch_execz .LBB4_265
; %bb.194:                              ;   in Loop: Header=BB4_47 Depth=1
	v_cmp_eq_u32_e64 s[42:43], 0, v0
	s_mov_b64 s[40:41], 0
	s_branch .LBB4_197
.LBB4_195:                              ;   in Loop: Header=BB4_197 Depth=2
	s_or_b64 exec, exec, s[42:43]
	v_add_co_u32_e32 v20, vcc, 2, v20
	v_addc_co_u32_e32 v21, vcc, 0, v21, vcc
	flat_store_dwordx2 v[22:23], v[20:21]
.LBB4_196:                              ;   in Loop: Header=BB4_197 Depth=2
	s_or_b64 exec, exec, s[26:27]
	v_add_u32_e32 v41, v8, v41
	s_mov_b64 s[42:43], 0
	s_andn2_b64 exec, exec, s[40:41]
	s_cbranch_execz .LBB4_264
.LBB4_197:                              ;   Parent Loop BB4_47 Depth=1
                                        ; =>  This Loop Header: Depth=2
                                        ;       Child Loop BB4_203 Depth 3
                                        ;       Child Loop BB4_227 Depth 3
	;; [unrolled: 1-line block ×3, first 2 shown]
	v_sub_u32_e32 v0, v40, v41
	v_min_i32_e32 v8, v8, v0
	v_and_b32_e32 v0, 8, v59
	v_cmp_ne_u32_e32 vcc, 0, v0
	s_and_saveexec_b64 s[76:77], vcc
	s_cbranch_execz .LBB4_219
; %bb.198:                              ;   in Loop: Header=BB4_197 Depth=2
	s_waitcnt vmcnt(0) lgkmcnt(0)
	v_add_co_u32_e32 v0, vcc, 8, v32
	v_addc_co_u32_e32 v1, vcc, 0, v33, vcc
	v_add_co_u32_e32 v10, vcc, 2, v20
	v_addc_co_u32_e32 v11, vcc, 0, v21, vcc
	v_cmp_lt_u64_e32 vcc, v[0:1], v[10:11]
	s_and_saveexec_b64 s[78:79], vcc
	s_cbranch_execz .LBB4_210
; %bb.199:                              ;   in Loop: Header=BB4_197 Depth=2
	v_and_b32_e32 v0, 64, v59
	s_mov_b32 s9, 0
	v_cmp_eq_u32_e32 vcc, 0, v0
	s_mov_b64 s[88:89], 0
                                        ; implicit-def: $sgpr90_sgpr91
                                        ; implicit-def: $sgpr92_sgpr93
                                        ; implicit-def: $sgpr94_sgpr95
	s_branch .LBB4_203
.LBB4_200:                              ;   in Loop: Header=BB4_203 Depth=3
	s_waitcnt vmcnt(0) lgkmcnt(0)
	v_add_co_u32_e64 v3, s[26:27], 8, v32
	v_addc_co_u32_e64 v4, s[26:27], 0, v33, s[26:27]
	v_cmp_ge_u64_e64 s[26:27], v[3:4], v[10:11]
	s_or_b64 s[36:37], s[36:37], exec
	s_orn2_b64 s[34:35], s[26:27], exec
.LBB4_201:                              ;   in Loop: Header=BB4_203 Depth=3
	s_or_b64 exec, exec, s[48:49]
	s_andn2_b64 s[26:27], s[94:95], exec
	s_and_b64 s[94:95], s[36:37], exec
	s_or_b64 s[94:95], s[26:27], s[94:95]
	s_andn2_b64 s[26:27], s[92:93], exec
	s_and_b64 s[92:93], s[34:35], exec
	s_or_b64 s[92:93], s[26:27], s[92:93]
.LBB4_202:                              ;   in Loop: Header=BB4_203 Depth=3
	s_or_b64 exec, exec, s[30:31]
	s_and_b64 s[26:27], exec, s[92:93]
	s_or_b64 s[88:89], s[26:27], s[88:89]
	s_andn2_b64 s[26:27], s[90:91], exec
	s_and_b64 s[90:91], s[94:95], exec
	s_or_b64 s[90:91], s[26:27], s[90:91]
	s_andn2_b64 exec, exec, s[88:89]
	s_cbranch_execz .LBB4_207
.LBB4_203:                              ;   Parent Loop BB4_47 Depth=1
                                        ;     Parent Loop BB4_197 Depth=2
                                        ; =>    This Inner Loop Header: Depth=3
	s_sleep 1
	s_waitcnt vmcnt(0) lgkmcnt(0)
	flat_load_dwordx2 v[32:33], v[22:23] glc
	s_or_b64 s[94:95], s[94:95], exec
	s_or_b64 s[92:93], s[92:93], exec
                                        ; implicit-def: $vgpr0
	s_and_saveexec_b64 s[30:31], vcc
	s_cbranch_execz .LBB4_202
; %bb.204:                              ;   in Loop: Header=BB4_203 Depth=3
	s_cmpk_lt_i32 s9, 0x270f
	s_cselect_b64 s[38:39], -1, 0
	s_cmpk_gt_i32 s9, 0x270e
	s_mov_b64 s[34:35], -1
	s_cbranch_scc0 .LBB4_206
; %bb.205:                              ;   in Loop: Header=BB4_203 Depth=3
	s_trap 2
	ds_read_b64 v[0:1], v0
	s_andn2_b64 s[38:39], s[38:39], exec
	s_mov_b32 s9, 0
	s_mov_b64 s[36:37], 0
	s_waitcnt vmcnt(0) lgkmcnt(0)
	flat_load_dword v0, v[0:1] glc
	s_waitcnt vmcnt(0) lgkmcnt(0)
	buffer_wbinvl1_vol
	v_cmp_eq_u32_e64 s[26:27], 0, v0
	s_and_b64 s[26:27], s[26:27], exec
	s_or_b64 s[38:39], s[38:39], s[26:27]
	s_and_saveexec_b64 s[48:49], s[38:39]
	s_cbranch_execz .LBB4_201
	s_branch .LBB4_200
.LBB4_206:                              ;   in Loop: Header=BB4_203 Depth=3
	s_add_i32 s9, s9, 1
	s_mov_b64 s[36:37], -1
                                        ; implicit-def: $vgpr0
	s_and_saveexec_b64 s[48:49], s[38:39]
	s_cbranch_execz .LBB4_201
	s_branch .LBB4_200
.LBB4_207:                              ;   in Loop: Header=BB4_197 Depth=2
	s_or_b64 exec, exec, s[88:89]
	s_xor_b64 s[8:9], s[90:91], -1
	s_and_saveexec_b64 s[26:27], s[8:9]
	s_xor_b64 s[26:27], exec, s[26:27]
	s_cbranch_execz .LBB4_209
; %bb.208:                              ;   in Loop: Header=BB4_197 Depth=2
	v_or_b32_e32 v59, 64, v59
	s_waitcnt lgkmcnt(0)
	ds_write_b32 v0, v0
	s_trap 2
.LBB4_209:                              ;   in Loop: Header=BB4_197 Depth=2
	s_or_b64 exec, exec, s[26:27]
.LBB4_210:                              ;   in Loop: Header=BB4_197 Depth=2
	s_or_b64 exec, exec, s[78:79]
	v_and_b32_e32 v0, 0x100, v59
	v_cmp_ne_u32_e32 vcc, 0, v0
	v_and_b32_e32 v0, 7, v20
	s_mov_b64 s[26:27], -1
	;;#ASMSTART
	s_wakeup
	;;#ASMEND
                                        ; implicit-def: $vgpr12_vgpr13
	s_and_saveexec_b64 s[78:79], vcc
	s_cbranch_execz .LBB4_214
; %bb.211:                              ;   in Loop: Header=BB4_197 Depth=2
	v_mad_u64_u32 v[14:15], s[8:9], v0, 24, v[16:17]
	v_ashrrev_i32_e32 v9, 31, v8
                                        ; implicit-def: $vgpr12_vgpr13
	flat_load_dword v1, v[14:15]
	s_nop 0
	flat_store_dwordx2 v[14:15], v[8:9] offset:8
	s_waitcnt vmcnt(0) lgkmcnt(0)
	v_cmp_ne_u32_e32 vcc, 1, v1
	v_cmp_eq_u32_e64 s[26:27], 1, v1
	s_and_saveexec_b64 s[88:89], s[26:27]
	s_cbranch_execz .LBB4_213
; %bb.212:                              ;   in Loop: Header=BB4_197 Depth=2
	flat_load_dword v12, v[14:15] offset:4 glc
	s_waitcnt vmcnt(0) lgkmcnt(0)
	v_ashrrev_i32_e32 v13, 31, v12
.LBB4_213:                              ;   in Loop: Header=BB4_197 Depth=2
	s_or_b64 exec, exec, s[88:89]
	s_orn2_b64 s[26:27], vcc, exec
.LBB4_214:                              ;   in Loop: Header=BB4_197 Depth=2
	s_or_b64 exec, exec, s[78:79]
	s_and_saveexec_b64 s[78:79], s[26:27]
; %bb.215:                              ;   in Loop: Header=BB4_197 Depth=2
	v_mad_i64_i32 v[12:13], s[8:9], v0, v61, 0
; %bb.216:                              ;   in Loop: Header=BB4_197 Depth=2
	s_or_b64 exec, exec, s[78:79]
	v_add_co_u32_e32 v0, vcc, v56, v12
	v_addc_co_u32_e32 v1, vcc, v57, v13, vcc
	ds_write_b64 v0, v[0:1] offset:784
	v_and_b32_e32 v0, 0x2000, v59
	v_cmp_ne_u32_e32 vcc, 0, v0
	s_and_saveexec_b64 s[26:27], vcc
	s_cbranch_execz .LBB4_218
; %bb.217:                              ;   in Loop: Header=BB4_197 Depth=2
	ds_read_b64 v[0:1], v0 offset:872
	s_waitcnt lgkmcnt(0)
	v_add_co_u32_e32 v0, vcc, 1, v0
	v_addc_co_u32_e32 v1, vcc, 0, v1, vcc
	ds_write_b64 v0, v[0:1] offset:872
.LBB4_218:                              ;   in Loop: Header=BB4_197 Depth=2
	s_or_b64 exec, exec, s[26:27]
	v_mov_b32_e32 v21, v11
	v_mov_b32_e32 v20, v10
.LBB4_219:                              ;   in Loop: Header=BB4_197 Depth=2
	s_or_b64 exec, exec, s[76:77]
	s_xor_b64 s[8:9], s[42:43], -1
	s_and_b64 s[8:9], exec, s[8:9]
	s_or_b64 s[40:41], s[8:9], s[40:41]
	s_and_saveexec_b64 s[26:27], s[10:11]
	s_cbranch_execz .LBB4_238
; %bb.220:                              ;   in Loop: Header=BB4_197 Depth=2
	s_and_saveexec_b64 s[8:9], s[56:57]
	s_xor_b64 s[42:43], exec, s[8:9]
	s_cbranch_execz .LBB4_235
; %bb.221:                              ;   in Loop: Header=BB4_197 Depth=2
	s_and_saveexec_b64 s[76:77], s[16:17]
	s_cbranch_execz .LBB4_234
; %bb.222:                              ;   in Loop: Header=BB4_197 Depth=2
	s_mov_b64 s[88:89], exec
	v_mbcnt_lo_u32_b32 v0, s88, 0
	v_mbcnt_hi_u32_b32 v0, s89, v0
	v_cmp_eq_u32_e32 vcc, 0, v0
	s_waitcnt vmcnt(0) lgkmcnt(0)
	buffer_wbinvl1_vol
	s_and_saveexec_b64 s[78:79], vcc
	s_cbranch_execz .LBB4_224
; %bb.223:                              ;   in Loop: Header=BB4_197 Depth=2
	s_bcnt1_i32_b64 s8, s[88:89]
	v_mov_b32_e32 v0, s8
	v_mov_b32_e32 v1, v34
	ds_add_u64 v0, v[0:1]
	s_trap 2
.LBB4_224:                              ;   in Loop: Header=BB4_197 Depth=2
	s_or_b64 exec, exec, s[78:79]
	s_trap 2
	ds_read_b64 v[0:1], v0
	s_waitcnt lgkmcnt(0)
	v_add_co_u32_e32 v28, vcc, v28, v39
	v_addc_co_u32_e32 v29, vcc, 0, v29, vcc
	v_cmp_lt_u64_e32 vcc, v[0:1], v[28:29]
	s_and_saveexec_b64 s[78:79], vcc
	s_cbranch_execz .LBB4_233
; %bb.225:                              ;   in Loop: Header=BB4_197 Depth=2
	s_mov_b32 s8, 0
	s_mov_b64 s[88:89], 0
                                        ; implicit-def: $sgpr90_sgpr91
                                        ; implicit-def: $sgpr92_sgpr93
	s_branch .LBB4_227
.LBB4_226:                              ;   in Loop: Header=BB4_227 Depth=3
	s_or_b64 exec, exec, s[30:31]
	s_and_b64 s[94:95], exec, vcc
	s_or_b64 s[88:89], s[94:95], s[88:89]
	s_andn2_b64 s[90:91], s[90:91], exec
	s_and_b64 s[94:95], s[92:93], exec
	s_or_b64 s[90:91], s[90:91], s[94:95]
	s_andn2_b64 exec, exec, s[88:89]
	s_cbranch_execz .LBB4_231
.LBB4_227:                              ;   Parent Loop BB4_47 Depth=1
                                        ;     Parent Loop BB4_197 Depth=2
                                        ; =>    This Inner Loop Header: Depth=3
	s_add_i32 s8, s8, 1
	s_cmpk_lg_i32 s8, 0x2710
	s_cselect_b64 s[94:95], -1, 0
	s_and_b64 vcc, exec, s[94:95]
	s_cbranch_vccz .LBB4_229
; %bb.228:                              ;   in Loop: Header=BB4_227 Depth=3
	s_mov_b64 vcc, -1
	s_or_b64 s[92:93], s[92:93], exec
	s_and_saveexec_b64 s[30:31], s[94:95]
	s_cbranch_execz .LBB4_226
	s_branch .LBB4_230
.LBB4_229:                              ;   in Loop: Header=BB4_227 Depth=3
	s_trap 2
	ds_read_b64 v[0:1], v0
	s_andn2_b64 s[94:95], s[94:95], exec
	s_mov_b32 s8, 0
	s_waitcnt lgkmcnt(0)
	flat_load_dword v0, v[0:1] glc
	s_waitcnt vmcnt(0) lgkmcnt(0)
	buffer_wbinvl1_vol
	v_cmp_eq_u32_e32 vcc, 0, v0
	s_and_b64 vcc, vcc, exec
	s_or_b64 s[94:95], s[94:95], vcc
	s_mov_b64 vcc, -1
	s_or_b64 s[92:93], s[92:93], exec
	s_and_saveexec_b64 s[30:31], s[94:95]
	s_cbranch_execz .LBB4_226
.LBB4_230:                              ;   in Loop: Header=BB4_227 Depth=3
	s_sleep 1
	s_trap 2
	ds_read_b64 v[0:1], v0
	s_waitcnt lgkmcnt(0)
	s_andn2_b64 s[92:93], s[92:93], exec
	v_cmp_ge_u64_e32 vcc, v[0:1], v[28:29]
	s_orn2_b64 vcc, vcc, exec
	s_branch .LBB4_226
.LBB4_231:                              ;   in Loop: Header=BB4_197 Depth=2
	s_or_b64 exec, exec, s[88:89]
	s_and_saveexec_b64 s[8:9], s[90:91]
	s_xor_b64 s[8:9], exec, s[8:9]
	s_cbranch_execz .LBB4_233
; %bb.232:                              ;   in Loop: Header=BB4_197 Depth=2
	ds_write_b32 v0, v45
	s_trap 2
.LBB4_233:                              ;   in Loop: Header=BB4_197 Depth=2
	s_or_b64 exec, exec, s[78:79]
	;;#ASMSTART
	s_wakeup
	;;#ASMEND
.LBB4_234:                              ;   in Loop: Header=BB4_197 Depth=2
	s_or_b64 exec, exec, s[76:77]
.LBB4_235:                              ;   in Loop: Header=BB4_197 Depth=2
	s_andn2_saveexec_b64 s[42:43], s[42:43]
	s_cbranch_execz .LBB4_237
; %bb.236:                              ;   in Loop: Header=BB4_197 Depth=2
	s_waitcnt vmcnt(0) lgkmcnt(0)
	buffer_wbinvl1_vol
	s_barrier
.LBB4_237:                              ;   in Loop: Header=BB4_197 Depth=2
	s_or_b64 exec, exec, s[42:43]
.LBB4_238:                              ;   in Loop: Header=BB4_197 Depth=2
	s_or_b64 exec, exec, s[26:27]
                                        ; implicit-def: $vgpr0
	s_and_saveexec_b64 s[8:9], s[24:25]
	s_xor_b64 s[26:27], exec, s[8:9]
	s_cbranch_execz .LBB4_243
; %bb.239:                              ;   in Loop: Header=BB4_197 Depth=2
	s_trap 2
	ds_read_b32 v0, v0
	v_cmp_lt_i32_e32 vcc, 0, v8
	v_and_b32_e32 v1, 16, v59
	s_waitcnt lgkmcnt(0)
	v_readfirstlane_b32 s8, v0
	s_cmp_eq_u32 s8, 0
	s_cselect_b64 s[8:9], -1, 0
	s_and_b64 s[8:9], vcc, s[8:9]
	v_cmp_ne_u32_e32 vcc, 0, v1
	v_and_b32_e32 v0, 16, v59
	s_and_b64 s[8:9], vcc, s[8:9]
	s_and_saveexec_b64 s[42:43], s[8:9]
	s_cbranch_execz .LBB4_241
; %bb.240:                              ;   in Loop: Header=BB4_197 Depth=2
	v_mov_b32_e32 v0, 1
	s_waitcnt vmcnt(0)
	buffer_wbinvl1_vol
.LBB4_241:                              ;   in Loop: Header=BB4_197 Depth=2
	s_or_b64 exec, exec, s[42:43]
	s_andn2_saveexec_b64 s[26:27], s[26:27]
	s_cbranch_execnz .LBB4_244
.LBB4_242:                              ;   in Loop: Header=BB4_197 Depth=2
	s_or_b64 exec, exec, s[26:27]
	v_cmp_ne_u32_e32 vcc, 0, v0
	s_and_saveexec_b64 s[26:27], vcc
	s_cbranch_execz .LBB4_196
	s_branch .LBB4_262
.LBB4_243:                              ;   in Loop: Header=BB4_197 Depth=2
	s_andn2_saveexec_b64 s[26:27], s[26:27]
	s_cbranch_execz .LBB4_242
.LBB4_244:                              ;   in Loop: Header=BB4_197 Depth=2
	s_and_saveexec_b64 s[8:9], s[56:57]
	s_xor_b64 s[42:43], exec, s[8:9]
	s_cbranch_execz .LBB4_259
; %bb.245:                              ;   in Loop: Header=BB4_197 Depth=2
	s_and_saveexec_b64 s[76:77], s[16:17]
	s_cbranch_execz .LBB4_258
; %bb.246:                              ;   in Loop: Header=BB4_197 Depth=2
	s_mov_b64 s[88:89], exec
	v_mbcnt_lo_u32_b32 v0, s88, 0
	v_mbcnt_hi_u32_b32 v0, s89, v0
	v_cmp_eq_u32_e32 vcc, 0, v0
	;;#ASMSTART
	s_waitcnt lgkmcnt(0) vmcnt(0)
	;;#ASMEND
	s_and_saveexec_b64 s[78:79], vcc
	s_cbranch_execz .LBB4_248
; %bb.247:                              ;   in Loop: Header=BB4_197 Depth=2
	s_bcnt1_i32_b64 s8, s[88:89]
	v_mov_b32_e32 v0, s8
	v_mov_b32_e32 v1, v34
	s_waitcnt lgkmcnt(0)
	ds_add_u64 v0, v[0:1]
	s_trap 2
.LBB4_248:                              ;   in Loop: Header=BB4_197 Depth=2
	s_or_b64 exec, exec, s[78:79]
	s_trap 2
	ds_read_b64 v[0:1], v0
	s_waitcnt lgkmcnt(0)
	v_add_co_u32_e32 v28, vcc, v28, v39
	v_addc_co_u32_e32 v29, vcc, 0, v29, vcc
	v_cmp_lt_u64_e32 vcc, v[0:1], v[28:29]
	s_and_saveexec_b64 s[78:79], vcc
	s_cbranch_execz .LBB4_257
; %bb.249:                              ;   in Loop: Header=BB4_197 Depth=2
	s_mov_b32 s8, 0
	s_mov_b64 s[88:89], 0
                                        ; implicit-def: $sgpr90_sgpr91
                                        ; implicit-def: $sgpr92_sgpr93
	s_branch .LBB4_251
.LBB4_250:                              ;   in Loop: Header=BB4_251 Depth=3
	s_or_b64 exec, exec, s[30:31]
	s_and_b64 s[94:95], exec, vcc
	s_or_b64 s[88:89], s[94:95], s[88:89]
	s_andn2_b64 s[90:91], s[90:91], exec
	s_and_b64 s[94:95], s[92:93], exec
	s_or_b64 s[90:91], s[90:91], s[94:95]
	s_andn2_b64 exec, exec, s[88:89]
	s_cbranch_execz .LBB4_255
.LBB4_251:                              ;   Parent Loop BB4_47 Depth=1
                                        ;     Parent Loop BB4_197 Depth=2
                                        ; =>    This Inner Loop Header: Depth=3
	s_add_i32 s8, s8, 1
	s_cmpk_lg_i32 s8, 0x2710
	s_cselect_b64 s[94:95], -1, 0
	s_and_b64 vcc, exec, s[94:95]
	s_cbranch_vccz .LBB4_253
; %bb.252:                              ;   in Loop: Header=BB4_251 Depth=3
	s_mov_b64 vcc, -1
	s_or_b64 s[92:93], s[92:93], exec
	s_and_saveexec_b64 s[30:31], s[94:95]
	s_cbranch_execz .LBB4_250
	s_branch .LBB4_254
.LBB4_253:                              ;   in Loop: Header=BB4_251 Depth=3
	s_trap 2
	ds_read_b64 v[0:1], v0
	s_andn2_b64 s[94:95], s[94:95], exec
	s_mov_b32 s8, 0
	s_waitcnt vmcnt(0) lgkmcnt(0)
	flat_load_dword v0, v[0:1] glc
	s_waitcnt vmcnt(0) lgkmcnt(0)
	buffer_wbinvl1_vol
	v_cmp_eq_u32_e32 vcc, 0, v0
	s_and_b64 vcc, vcc, exec
	s_or_b64 s[94:95], s[94:95], vcc
	s_mov_b64 vcc, -1
	s_or_b64 s[92:93], s[92:93], exec
	s_and_saveexec_b64 s[30:31], s[94:95]
	s_cbranch_execz .LBB4_250
.LBB4_254:                              ;   in Loop: Header=BB4_251 Depth=3
	s_sleep 1
	s_trap 2
	ds_read_b64 v[0:1], v0
	s_waitcnt lgkmcnt(0)
	s_andn2_b64 s[92:93], s[92:93], exec
	v_cmp_ge_u64_e32 vcc, v[0:1], v[28:29]
	s_orn2_b64 vcc, vcc, exec
	s_branch .LBB4_250
.LBB4_255:                              ;   in Loop: Header=BB4_197 Depth=2
	s_or_b64 exec, exec, s[88:89]
	s_and_saveexec_b64 s[8:9], s[90:91]
	s_xor_b64 s[8:9], exec, s[8:9]
	s_cbranch_execz .LBB4_257
; %bb.256:                              ;   in Loop: Header=BB4_197 Depth=2
	ds_write_b32 v0, v45
	s_trap 2
.LBB4_257:                              ;   in Loop: Header=BB4_197 Depth=2
	s_or_b64 exec, exec, s[78:79]
	;;#ASMSTART
	s_wakeup
	;;#ASMEND
.LBB4_258:                              ;   in Loop: Header=BB4_197 Depth=2
	s_or_b64 exec, exec, s[76:77]
.LBB4_259:                              ;   in Loop: Header=BB4_197 Depth=2
	s_andn2_saveexec_b64 s[42:43], s[42:43]
	s_cbranch_execz .LBB4_261
; %bb.260:                              ;   in Loop: Header=BB4_197 Depth=2
	;;#ASMSTART
	s_waitcnt lgkmcnt(0) vmcnt(0)
	;;#ASMEND
	s_waitcnt vmcnt(0) lgkmcnt(0)
	s_barrier
.LBB4_261:                              ;   in Loop: Header=BB4_197 Depth=2
	s_or_b64 exec, exec, s[42:43]
	v_and_b32_e32 v0, 16, v59
	s_or_b64 exec, exec, s[26:27]
	v_cmp_ne_u32_e32 vcc, 0, v0
	s_and_saveexec_b64 s[26:27], vcc
	s_cbranch_execz .LBB4_196
.LBB4_262:                              ;   in Loop: Header=BB4_197 Depth=2
	s_and_saveexec_b64 s[42:43], s[14:15]
	s_cbranch_execz .LBB4_195
; %bb.263:                              ;   in Loop: Header=BB4_197 Depth=2
	flat_store_dword v[46:47], v45
	s_branch .LBB4_195
.LBB4_264:                              ;   in Loop: Header=BB4_47 Depth=1
	s_or_b64 exec, exec, s[40:41]
.LBB4_265:                              ;   in Loop: Header=BB4_47 Depth=1
	s_or_b64 exec, exec, s[28:29]
	buffer_load_dword v41, off, s[0:3], s33 offset:120 ; 4-byte Folded Reload
	buffer_load_dword v40, off, s[0:3], s33 offset:112 ; 4-byte Folded Reload
	v_cndmask_b32_e64 v0, 0, 1, s[60:61]
	v_cmp_ne_u32_e64 s[26:27], 1, v0
	s_andn2_b64 vcc, exec, s[60:61]
	s_cbranch_vccnz .LBB4_488
; %bb.266:                              ;   in Loop: Header=BB4_47 Depth=1
	s_mov_b32 s9, 2
	s_branch .LBB4_269
.LBB4_267:                              ;   in Loop: Header=BB4_269 Depth=2
	s_or_b64 exec, exec, s[42:43]
.LBB4_268:                              ;   in Loop: Header=BB4_269 Depth=2
	s_or_b64 exec, exec, s[40:41]
	s_add_i32 s9, s9, 1
	s_cmp_eq_u32 s9, s52
	s_cbranch_scc1 .LBB4_488
.LBB4_269:                              ;   Parent Loop BB4_47 Depth=1
                                        ; =>  This Loop Header: Depth=2
                                        ;       Child Loop BB4_272 Depth 3
                                        ;         Child Loop BB4_280 Depth 4
                                        ;         Child Loop BB4_308 Depth 4
	;; [unrolled: 1-line block ×9, first 2 shown]
                                        ;       Child Loop BB4_416 Depth 3
                                        ;         Child Loop BB4_422 Depth 4
                                        ;         Child Loop BB4_450 Depth 4
	;; [unrolled: 1-line block ×3, first 2 shown]
	buffer_load_dword v2, off, s[0:3], s33 offset:172 ; 4-byte Folded Reload
	buffer_load_dword v3, off, s[0:3], s33 offset:176 ; 4-byte Folded Reload
	s_sub_i32 s8, s98, s9
	s_cmp_ge_i32 s8, s52
	s_cselect_b32 s28, s52, 0
	s_sub_i32 s8, s8, s28
	s_ashr_i32 s40, s8, 31
	v_mov_b32_e32 v43, 0
	s_waitcnt vmcnt(0)
	v_mad_u64_u32 v[10:11], s[28:29], v2, s8, 0
	v_mul_lo_u32 v0, v3, s8
	v_mul_lo_u32 v1, v2, s40
	v_add3_u32 v11, v11, v1, v0
	buffer_load_dword v0, off, s[0:3], s33 offset:164 ; 4-byte Folded Reload
	buffer_load_dword v1, off, s[0:3], s33 offset:168 ; 4-byte Folded Reload
	s_waitcnt vmcnt(0)
	v_sub_co_u32_e32 v0, vcc, v0, v10
	v_subb_co_u32_e32 v1, vcc, v1, v11, vcc
	v_cmp_lt_i64_e32 vcc, v[2:3], v[0:1]
	v_cndmask_b32_e32 v0, v0, v2, vcc
	v_max_i32_e32 v42, 0, v0
	v_add_u32_e32 v1, 31, v42
	v_lshrrev_b32_e32 v1, 1, v1
	v_and_b32_e32 v1, 0x3ffffff0, v1
	v_cmp_lt_i32_e32 vcc, 0, v0
	v_max_i32_e32 v8, s47, v1
	s_and_b64 s[28:29], s[72:73], vcc
	v_mov_b32_e32 v0, 0
	s_and_saveexec_b64 s[40:41], s[28:29]
	s_cbranch_execz .LBB4_413
; %bb.270:                              ;   in Loop: Header=BB4_269 Depth=2
	s_mov_b32 s75, 1
	s_mov_b64 s[76:77], -1
	v_mov_b32_e32 v43, 0
	s_mov_b64 s[42:43], 0
	s_branch .LBB4_272
.LBB4_271:                              ;   in Loop: Header=BB4_272 Depth=3
	s_or_b64 exec, exec, s[28:29]
	v_add_u32_e32 v43, v8, v43
	v_cmp_ge_i32_e32 vcc, v43, v42
	s_xor_b64 s[28:29], s[76:77], -1
	s_or_b64 s[28:29], s[28:29], vcc
	s_and_b64 s[28:29], exec, s[28:29]
	s_or_b64 s[42:43], s[28:29], s[42:43]
	s_mov_b64 s[76:77], 0
	v_mov_b32_e32 v0, s75
	s_mov_b32 s75, 2
	s_andn2_b64 exec, exec, s[42:43]
	s_cbranch_execz .LBB4_412
.LBB4_272:                              ;   Parent Loop BB4_47 Depth=1
                                        ;     Parent Loop BB4_269 Depth=2
                                        ; =>    This Loop Header: Depth=3
                                        ;         Child Loop BB4_280 Depth 4
                                        ;         Child Loop BB4_308 Depth 4
	;; [unrolled: 1-line block ×9, first 2 shown]
	s_and_saveexec_b64 s[28:29], s[4:5]
	s_cbranch_execz .LBB4_274
; %bb.273:                              ;   in Loop: Header=BB4_272 Depth=3
	s_trap 2
	buffer_load_dword v2, off, s[0:3], s33 offset:84 ; 4-byte Folded Reload
	ds_read_b64 v[0:1], v0
	v_ashrrev_i32_e32 v3, 31, v43
	v_mov_b32_e32 v35, v34
	s_waitcnt vmcnt(0) lgkmcnt(0)
	v_add_co_u32_e32 v0, vcc, v0, v2
	buffer_load_dword v2, off, s[0:3], s33 offset:88 ; 4-byte Folded Reload
	s_waitcnt vmcnt(0)
	v_addc_co_u32_e32 v1, vcc, v1, v2, vcc
	v_add_co_u32_e32 v0, vcc, v0, v10
	v_addc_co_u32_e32 v1, vcc, v1, v11, vcc
	v_add_co_u32_e32 v0, vcc, v0, v43
	v_addc_co_u32_e32 v1, vcc, v1, v3, vcc
	ds_write_b64 v0, v[0:1]
	ds_write_b64 v0, v[34:35]
.LBB4_274:                              ;   in Loop: Header=BB4_272 Depth=3
	s_or_b64 exec, exec, s[28:29]
	v_sub_u32_e32 v0, v42, v43
	v_min_i32_e32 v8, v8, v0
	v_and_b32_e32 v0, 12, v59
	v_cmp_ne_u32_e32 vcc, 0, v0
	s_and_saveexec_b64 s[78:79], vcc
	s_cbranch_execz .LBB4_300
; %bb.275:                              ;   in Loop: Header=BB4_272 Depth=3
	v_and_b32_e32 v0, 8, v59
	s_waitcnt vmcnt(0) lgkmcnt(0)
	v_add_co_u32_e32 v3, vcc, v32, v0
	v_addc_co_u32_e32 v4, vcc, 0, v33, vcc
	v_add_co_u32_e32 v12, vcc, 2, v20
	v_addc_co_u32_e32 v13, vcc, 0, v21, vcc
	v_cmp_lt_u64_e32 vcc, v[3:4], v[12:13]
	s_and_saveexec_b64 s[88:89], vcc
	s_cbranch_execz .LBB4_287
; %bb.276:                              ;   in Loop: Header=BB4_272 Depth=3
	v_and_b32_e32 v1, 64, v59
	s_mov_b32 s8, 0
	v_cmp_eq_u32_e32 vcc, 0, v1
	s_mov_b64 s[90:91], 0
                                        ; implicit-def: $sgpr92_sgpr93
                                        ; implicit-def: $sgpr94_sgpr95
                                        ; implicit-def: $sgpr30_sgpr31
	s_branch .LBB4_280
.LBB4_277:                              ;   in Loop: Header=BB4_280 Depth=4
	s_waitcnt vmcnt(0) lgkmcnt(0)
	v_add_co_u32_e64 v3, s[28:29], v32, v0
	v_addc_co_u32_e64 v4, s[28:29], 0, v33, s[28:29]
	v_cmp_ge_u64_e64 s[28:29], v[3:4], v[12:13]
	s_or_b64 s[38:39], s[38:39], exec
	s_orn2_b64 s[36:37], s[28:29], exec
.LBB4_278:                              ;   in Loop: Header=BB4_280 Depth=4
	s_or_b64 exec, exec, s[50:51]
	s_andn2_b64 s[28:29], s[30:31], exec
	s_and_b64 s[30:31], s[38:39], exec
	s_or_b64 s[30:31], s[28:29], s[30:31]
	s_andn2_b64 s[28:29], s[94:95], exec
	s_and_b64 s[94:95], s[36:37], exec
	s_or_b64 s[94:95], s[28:29], s[94:95]
.LBB4_279:                              ;   in Loop: Header=BB4_280 Depth=4
	s_or_b64 exec, exec, s[34:35]
	s_and_b64 s[28:29], exec, s[94:95]
	s_or_b64 s[90:91], s[28:29], s[90:91]
	s_andn2_b64 s[28:29], s[92:93], exec
	s_and_b64 s[92:93], s[30:31], exec
	s_or_b64 s[92:93], s[28:29], s[92:93]
	s_andn2_b64 exec, exec, s[90:91]
	s_cbranch_execz .LBB4_284
.LBB4_280:                              ;   Parent Loop BB4_47 Depth=1
                                        ;     Parent Loop BB4_269 Depth=2
                                        ;       Parent Loop BB4_272 Depth=3
                                        ; =>      This Inner Loop Header: Depth=4
	s_sleep 1
	s_waitcnt vmcnt(0) lgkmcnt(0)
	flat_load_dwordx2 v[32:33], v[22:23] glc
	s_or_b64 s[30:31], s[30:31], exec
	s_or_b64 s[94:95], s[94:95], exec
                                        ; implicit-def: $vgpr1
	s_and_saveexec_b64 s[34:35], vcc
	s_cbranch_execz .LBB4_279
; %bb.281:                              ;   in Loop: Header=BB4_280 Depth=4
	s_cmpk_lt_i32 s8, 0x270f
	s_cselect_b64 s[48:49], -1, 0
	s_cmpk_gt_i32 s8, 0x270e
	s_mov_b64 s[36:37], -1
	s_cbranch_scc0 .LBB4_283
; %bb.282:                              ;   in Loop: Header=BB4_280 Depth=4
	s_trap 2
	ds_read_b64 v[3:4], v0
	s_andn2_b64 s[48:49], s[48:49], exec
	s_mov_b32 s8, 0
	s_mov_b64 s[38:39], 0
	s_waitcnt vmcnt(0) lgkmcnt(0)
	flat_load_dword v1, v[3:4] glc
	s_waitcnt vmcnt(0) lgkmcnt(0)
	buffer_wbinvl1_vol
	v_cmp_eq_u32_e64 s[28:29], 0, v1
	s_and_b64 s[28:29], s[28:29], exec
	s_or_b64 s[48:49], s[48:49], s[28:29]
	s_and_saveexec_b64 s[50:51], s[48:49]
	s_cbranch_execz .LBB4_278
	s_branch .LBB4_277
.LBB4_283:                              ;   in Loop: Header=BB4_280 Depth=4
	s_add_i32 s8, s8, 1
	s_mov_b64 s[38:39], -1
                                        ; implicit-def: $vgpr1
	s_and_saveexec_b64 s[50:51], s[48:49]
	s_cbranch_execz .LBB4_278
	s_branch .LBB4_277
.LBB4_284:                              ;   in Loop: Header=BB4_272 Depth=3
	s_or_b64 exec, exec, s[90:91]
	s_xor_b64 s[28:29], s[92:93], -1
	s_and_saveexec_b64 s[90:91], s[28:29]
	s_xor_b64 s[28:29], exec, s[90:91]
	s_cbranch_execz .LBB4_286
; %bb.285:                              ;   in Loop: Header=BB4_272 Depth=3
	v_or_b32_e32 v59, 64, v59
	s_waitcnt lgkmcnt(0)
	ds_write_b32 v0, v1
	s_trap 2
.LBB4_286:                              ;   in Loop: Header=BB4_272 Depth=3
	s_or_b64 exec, exec, s[28:29]
.LBB4_287:                              ;   in Loop: Header=BB4_272 Depth=3
	s_or_b64 exec, exec, s[88:89]
	v_and_b32_e32 v1, 0x108, v59
	v_cmp_ne_u32_e32 vcc, s55, v1
	;;#ASMSTART
	s_wakeup
	;;#ASMEND
                                        ; implicit-def: $vgpr14_vgpr15
	s_and_saveexec_b64 s[28:29], vcc
	s_xor_b64 s[28:29], exec, s[28:29]
; %bb.288:                              ;   in Loop: Header=BB4_272 Depth=3
	v_and_b32_e32 v14, 7, v20
	v_mov_b32_e32 v15, v34
                                        ; implicit-def: $vgpr20_vgpr21
; %bb.289:                              ;   in Loop: Header=BB4_272 Depth=3
	s_andn2_saveexec_b64 s[28:29], s[28:29]
	s_cbranch_execz .LBB4_291
; %bb.290:                              ;   in Loop: Header=BB4_272 Depth=3
	v_and_b32_e32 v14, 7, v20
	v_mad_u64_u32 v[3:4], s[88:89], v14, 24, v[16:17]
	v_mov_b32_e32 v15, v34
	v_ashrrev_i32_e32 v9, 31, v8
	flat_store_dwordx2 v[3:4], v[8:9] offset:8
.LBB4_291:                              ;   in Loop: Header=BB4_272 Depth=3
	s_or_b64 exec, exec, s[28:29]
	v_and_b32_e32 v1, 0x100, v59
	v_cmp_ne_u32_e32 vcc, 0, v1
	s_mov_b64 s[28:29], -1
                                        ; implicit-def: $vgpr48_vgpr49
	s_and_saveexec_b64 s[88:89], vcc
	s_cbranch_execz .LBB4_295
; %bb.292:                              ;   in Loop: Header=BB4_272 Depth=3
	v_mad_u64_u32 v[52:53], s[28:29], v14, 24, v[16:17]
                                        ; implicit-def: $vgpr48_vgpr49
	v_mov_b32_e32 v1, v53
	v_mad_u64_u32 v[3:4], s[28:29], v15, 24, v[1:2]
	v_mov_b32_e32 v53, v3
	flat_load_dword v1, v[52:53]
	s_waitcnt vmcnt(0) lgkmcnt(0)
	v_cmp_ne_u32_e32 vcc, 1, v1
	v_cmp_eq_u32_e64 s[28:29], 1, v1
	s_and_saveexec_b64 s[90:91], s[28:29]
	s_cbranch_execz .LBB4_294
; %bb.293:                              ;   in Loop: Header=BB4_272 Depth=3
	flat_load_dword v48, v[52:53] offset:4 glc
	s_waitcnt vmcnt(0) lgkmcnt(0)
	v_ashrrev_i32_e32 v49, 31, v48
.LBB4_294:                              ;   in Loop: Header=BB4_272 Depth=3
	s_or_b64 exec, exec, s[90:91]
	s_orn2_b64 s[28:29], vcc, exec
.LBB4_295:                              ;   in Loop: Header=BB4_272 Depth=3
	s_or_b64 exec, exec, s[88:89]
	s_and_saveexec_b64 s[88:89], s[28:29]
	s_cbranch_execz .LBB4_297
; %bb.296:                              ;   in Loop: Header=BB4_272 Depth=3
	v_mul_lo_u32 v1, v15, v61
	v_mul_lo_u32 v3, v14, v58
	v_mad_u64_u32 v[48:49], s[28:29], v14, v61, 0
	v_add3_u32 v49, v49, v3, v1
.LBB4_297:                              ;   in Loop: Header=BB4_272 Depth=3
	s_or_b64 exec, exec, s[88:89]
	v_cmp_eq_u32_e32 vcc, 0, v0
	v_cndmask_b32_e32 v3, v50, v54, vcc
	v_add_co_u32_e32 v0, vcc, v56, v48
	v_addc_co_u32_e32 v1, vcc, v57, v49, vcc
	v_add_u32_e32 v3, v0, v3
	ds_write_b64 v3, v[0:1] offset:584
	v_and_b32_e32 v0, 0x2000, v59
	v_cmp_ne_u32_e32 vcc, 0, v0
	s_and_saveexec_b64 s[28:29], vcc
	s_cbranch_execz .LBB4_299
; %bb.298:                              ;   in Loop: Header=BB4_272 Depth=3
	ds_read_b64 v[0:1], v0 offset:872
	s_waitcnt lgkmcnt(0)
	v_add_co_u32_e32 v0, vcc, 1, v0
	v_addc_co_u32_e32 v1, vcc, 0, v1, vcc
	ds_write_b64 v0, v[0:1] offset:872
.LBB4_299:                              ;   in Loop: Header=BB4_272 Depth=3
	s_or_b64 exec, exec, s[28:29]
	v_mov_b32_e32 v21, v13
	v_mov_b32_e32 v20, v12
.LBB4_300:                              ;   in Loop: Header=BB4_272 Depth=3
	s_or_b64 exec, exec, s[78:79]
	s_and_saveexec_b64 s[28:29], s[10:11]
	s_cbranch_execz .LBB4_319
; %bb.301:                              ;   in Loop: Header=BB4_272 Depth=3
	s_and_saveexec_b64 s[78:79], s[56:57]
	s_xor_b64 s[78:79], exec, s[78:79]
	s_cbranch_execz .LBB4_316
; %bb.302:                              ;   in Loop: Header=BB4_272 Depth=3
	s_and_saveexec_b64 s[88:89], s[16:17]
	s_cbranch_execz .LBB4_315
; %bb.303:                              ;   in Loop: Header=BB4_272 Depth=3
	s_mov_b64 s[92:93], exec
	v_mbcnt_lo_u32_b32 v0, s92, 0
	v_mbcnt_hi_u32_b32 v0, s93, v0
	v_cmp_eq_u32_e32 vcc, 0, v0
	s_waitcnt vmcnt(0) lgkmcnt(0)
	buffer_wbinvl1_vol
	s_and_saveexec_b64 s[90:91], vcc
	s_cbranch_execz .LBB4_305
; %bb.304:                              ;   in Loop: Header=BB4_272 Depth=3
	s_bcnt1_i32_b64 s8, s[92:93]
	v_mov_b32_e32 v0, s8
	v_mov_b32_e32 v1, v34
	ds_add_u64 v0, v[0:1]
	s_trap 2
.LBB4_305:                              ;   in Loop: Header=BB4_272 Depth=3
	s_or_b64 exec, exec, s[90:91]
	s_trap 2
	ds_read_b64 v[0:1], v0
	s_waitcnt lgkmcnt(0)
	v_add_co_u32_e32 v28, vcc, v28, v39
	v_addc_co_u32_e32 v29, vcc, 0, v29, vcc
	v_cmp_lt_u64_e32 vcc, v[0:1], v[28:29]
	s_and_saveexec_b64 s[90:91], vcc
	s_cbranch_execz .LBB4_314
; %bb.306:                              ;   in Loop: Header=BB4_272 Depth=3
	s_mov_b32 s8, 0
	s_mov_b64 s[92:93], 0
                                        ; implicit-def: $sgpr94_sgpr95
                                        ; implicit-def: $sgpr30_sgpr31
	s_branch .LBB4_308
.LBB4_307:                              ;   in Loop: Header=BB4_308 Depth=4
	s_or_b64 exec, exec, s[36:37]
	s_and_b64 vcc, exec, vcc
	s_or_b64 s[92:93], vcc, s[92:93]
	s_andn2_b64 s[94:95], s[94:95], exec
	s_and_b64 vcc, s[30:31], exec
	s_or_b64 s[94:95], s[94:95], vcc
	s_andn2_b64 exec, exec, s[92:93]
	s_cbranch_execz .LBB4_312
.LBB4_308:                              ;   Parent Loop BB4_47 Depth=1
                                        ;     Parent Loop BB4_269 Depth=2
                                        ;       Parent Loop BB4_272 Depth=3
                                        ; =>      This Inner Loop Header: Depth=4
	s_add_i32 s8, s8, 1
	s_cmpk_lg_i32 s8, 0x2710
	s_cselect_b64 s[34:35], -1, 0
	s_and_b64 vcc, exec, s[34:35]
	s_cbranch_vccz .LBB4_310
; %bb.309:                              ;   in Loop: Header=BB4_308 Depth=4
	s_mov_b64 vcc, -1
	s_or_b64 s[30:31], s[30:31], exec
	s_and_saveexec_b64 s[36:37], s[34:35]
	s_cbranch_execz .LBB4_307
	s_branch .LBB4_311
.LBB4_310:                              ;   in Loop: Header=BB4_308 Depth=4
	s_trap 2
	ds_read_b64 v[0:1], v0
	s_andn2_b64 s[34:35], s[34:35], exec
	s_mov_b32 s8, 0
	s_waitcnt lgkmcnt(0)
	flat_load_dword v0, v[0:1] glc
	s_waitcnt vmcnt(0) lgkmcnt(0)
	buffer_wbinvl1_vol
	v_cmp_eq_u32_e32 vcc, 0, v0
	s_and_b64 vcc, vcc, exec
	s_or_b64 s[34:35], s[34:35], vcc
	s_mov_b64 vcc, -1
	s_or_b64 s[30:31], s[30:31], exec
	s_and_saveexec_b64 s[36:37], s[34:35]
	s_cbranch_execz .LBB4_307
.LBB4_311:                              ;   in Loop: Header=BB4_308 Depth=4
	s_sleep 1
	s_trap 2
	ds_read_b64 v[0:1], v0
	s_waitcnt lgkmcnt(0)
	s_andn2_b64 s[30:31], s[30:31], exec
	v_cmp_ge_u64_e32 vcc, v[0:1], v[28:29]
	s_orn2_b64 vcc, vcc, exec
	s_branch .LBB4_307
.LBB4_312:                              ;   in Loop: Header=BB4_272 Depth=3
	s_or_b64 exec, exec, s[92:93]
	s_and_saveexec_b64 s[92:93], s[94:95]
	s_xor_b64 s[92:93], exec, s[92:93]
	s_cbranch_execz .LBB4_314
; %bb.313:                              ;   in Loop: Header=BB4_272 Depth=3
	ds_write_b32 v0, v45
	s_trap 2
.LBB4_314:                              ;   in Loop: Header=BB4_272 Depth=3
	s_or_b64 exec, exec, s[90:91]
	;;#ASMSTART
	s_wakeup
	;;#ASMEND
.LBB4_315:                              ;   in Loop: Header=BB4_272 Depth=3
	s_or_b64 exec, exec, s[88:89]
.LBB4_316:                              ;   in Loop: Header=BB4_272 Depth=3
	s_andn2_saveexec_b64 s[78:79], s[78:79]
	s_cbranch_execz .LBB4_318
; %bb.317:                              ;   in Loop: Header=BB4_272 Depth=3
	s_waitcnt vmcnt(0) lgkmcnt(0)
	buffer_wbinvl1_vol
	s_barrier
.LBB4_318:                              ;   in Loop: Header=BB4_272 Depth=3
	s_or_b64 exec, exec, s[78:79]
.LBB4_319:                              ;   in Loop: Header=BB4_272 Depth=3
	s_or_b64 exec, exec, s[28:29]
	s_trap 2
	ds_read_b32 v0, v0
	v_and_b32_e32 v1, 0x4000, v59
	v_cmp_ne_u32_e32 vcc, 0, v1
	s_xor_b64 s[28:29], s[6:7], -1
	s_and_b64 s[78:79], s[28:29], vcc
	s_and_saveexec_b64 s[28:29], s[78:79]
	s_cbranch_execz .LBB4_338
; %bb.320:                              ;   in Loop: Header=BB4_272 Depth=3
	s_and_saveexec_b64 s[78:79], s[56:57]
	s_xor_b64 s[78:79], exec, s[78:79]
	s_cbranch_execz .LBB4_335
; %bb.321:                              ;   in Loop: Header=BB4_272 Depth=3
	s_and_saveexec_b64 s[88:89], s[16:17]
	s_cbranch_execz .LBB4_334
; %bb.322:                              ;   in Loop: Header=BB4_272 Depth=3
	s_mov_b64 s[92:93], exec
	v_mbcnt_lo_u32_b32 v1, s92, 0
	v_mbcnt_hi_u32_b32 v1, s93, v1
	v_cmp_eq_u32_e32 vcc, 0, v1
	s_waitcnt vmcnt(0) lgkmcnt(0)
	buffer_wbinvl1_vol
	s_and_saveexec_b64 s[90:91], vcc
	s_cbranch_execz .LBB4_324
; %bb.323:                              ;   in Loop: Header=BB4_272 Depth=3
	s_bcnt1_i32_b64 s8, s[92:93]
	v_mov_b32_e32 v3, s8
	v_mov_b32_e32 v4, v34
	ds_add_u64 v0, v[3:4]
	s_trap 2
.LBB4_324:                              ;   in Loop: Header=BB4_272 Depth=3
	s_or_b64 exec, exec, s[90:91]
	s_trap 2
	ds_read_b64 v[3:4], v0
	s_waitcnt lgkmcnt(0)
	v_add_co_u32_e32 v28, vcc, v28, v39
	v_addc_co_u32_e32 v29, vcc, 0, v29, vcc
	v_cmp_lt_u64_e32 vcc, v[3:4], v[28:29]
	s_and_saveexec_b64 s[90:91], vcc
	s_cbranch_execz .LBB4_333
; %bb.325:                              ;   in Loop: Header=BB4_272 Depth=3
	s_mov_b32 s8, 0
	s_mov_b64 s[92:93], 0
                                        ; implicit-def: $sgpr94_sgpr95
                                        ; implicit-def: $sgpr30_sgpr31
	s_branch .LBB4_327
.LBB4_326:                              ;   in Loop: Header=BB4_327 Depth=4
	s_or_b64 exec, exec, s[36:37]
	s_and_b64 vcc, exec, vcc
	s_or_b64 s[92:93], vcc, s[92:93]
	s_andn2_b64 s[94:95], s[94:95], exec
	s_and_b64 vcc, s[30:31], exec
	s_or_b64 s[94:95], s[94:95], vcc
	s_andn2_b64 exec, exec, s[92:93]
	s_cbranch_execz .LBB4_331
.LBB4_327:                              ;   Parent Loop BB4_47 Depth=1
                                        ;     Parent Loop BB4_269 Depth=2
                                        ;       Parent Loop BB4_272 Depth=3
                                        ; =>      This Inner Loop Header: Depth=4
	s_add_i32 s8, s8, 1
	s_cmpk_lg_i32 s8, 0x2710
	s_cselect_b64 s[34:35], -1, 0
	s_and_b64 vcc, exec, s[34:35]
	s_cbranch_vccz .LBB4_329
; %bb.328:                              ;   in Loop: Header=BB4_327 Depth=4
	s_mov_b64 vcc, -1
	s_or_b64 s[30:31], s[30:31], exec
	s_and_saveexec_b64 s[36:37], s[34:35]
	s_cbranch_execz .LBB4_326
	s_branch .LBB4_330
.LBB4_329:                              ;   in Loop: Header=BB4_327 Depth=4
	s_trap 2
	ds_read_b64 v[3:4], v0
	s_andn2_b64 s[34:35], s[34:35], exec
	s_mov_b32 s8, 0
	s_waitcnt lgkmcnt(0)
	flat_load_dword v1, v[3:4] glc
	s_waitcnt vmcnt(0) lgkmcnt(0)
	buffer_wbinvl1_vol
	v_cmp_eq_u32_e32 vcc, 0, v1
	s_and_b64 vcc, vcc, exec
	s_or_b64 s[34:35], s[34:35], vcc
	s_mov_b64 vcc, -1
	s_or_b64 s[30:31], s[30:31], exec
	s_and_saveexec_b64 s[36:37], s[34:35]
	s_cbranch_execz .LBB4_326
.LBB4_330:                              ;   in Loop: Header=BB4_327 Depth=4
	s_sleep 1
	s_trap 2
	ds_read_b64 v[3:4], v0
	s_waitcnt lgkmcnt(0)
	s_andn2_b64 s[30:31], s[30:31], exec
	v_cmp_ge_u64_e32 vcc, v[3:4], v[28:29]
	s_orn2_b64 vcc, vcc, exec
	s_branch .LBB4_326
.LBB4_331:                              ;   in Loop: Header=BB4_272 Depth=3
	s_or_b64 exec, exec, s[92:93]
	s_and_saveexec_b64 s[92:93], s[94:95]
	s_xor_b64 s[92:93], exec, s[92:93]
	s_cbranch_execz .LBB4_333
; %bb.332:                              ;   in Loop: Header=BB4_272 Depth=3
	ds_write_b32 v0, v45
	s_trap 2
.LBB4_333:                              ;   in Loop: Header=BB4_272 Depth=3
	s_or_b64 exec, exec, s[90:91]
	;;#ASMSTART
	s_wakeup
	;;#ASMEND
.LBB4_334:                              ;   in Loop: Header=BB4_272 Depth=3
	s_or_b64 exec, exec, s[88:89]
.LBB4_335:                              ;   in Loop: Header=BB4_272 Depth=3
	s_andn2_saveexec_b64 s[78:79], s[78:79]
	s_cbranch_execz .LBB4_337
; %bb.336:                              ;   in Loop: Header=BB4_272 Depth=3
	s_waitcnt vmcnt(0) lgkmcnt(0)
	buffer_wbinvl1_vol
	s_barrier
.LBB4_337:                              ;   in Loop: Header=BB4_272 Depth=3
	s_or_b64 exec, exec, s[78:79]
.LBB4_338:                              ;   in Loop: Header=BB4_272 Depth=3
	s_or_b64 exec, exec, s[28:29]
	s_trap 2
	s_waitcnt lgkmcnt(0)
	ds_read_b64 v[14:15], v0
	s_waitcnt lgkmcnt(0)
	v_cmp_eq_u64_e32 vcc, 0, v[14:15]
	s_cbranch_vccnz .LBB4_346
; %bb.339:                              ;   in Loop: Header=BB4_272 Depth=3
	s_trap 2
	ds_read_b64 v[12:13], v0
	s_waitcnt lgkmcnt(0)
	v_cmp_eq_u64_e32 vcc, 0, v[12:13]
	s_cbranch_vccnz .LBB4_346
; %bb.340:                              ;   in Loop: Header=BB4_272 Depth=3
	s_mov_b64 s[28:29], -1
	s_and_saveexec_b64 s[78:79], s[22:23]
	s_cbranch_execz .LBB4_342
; %bb.341:                              ;   in Loop: Header=BB4_272 Depth=3
	ds_read_b32 v1, v0 offset:720
	s_waitcnt lgkmcnt(0)
	v_and_b32_e32 v1, 15, v1
	v_cmp_eq_u32_e32 vcc, 0, v1
	s_orn2_b64 s[28:29], vcc, exec
.LBB4_342:                              ;   in Loop: Header=BB4_272 Depth=3
	s_or_b64 exec, exec, s[78:79]
	s_and_saveexec_b64 s[78:79], s[20:21]
	s_cbranch_execz .LBB4_344
; %bb.343:                              ;   in Loop: Header=BB4_272 Depth=3
	ds_read_b32 v1, v0 offset:784
	s_waitcnt lgkmcnt(0)
	v_and_b32_e32 v1, 15, v1
	v_cmp_eq_u32_e32 vcc, 0, v1
	s_and_b64 s[88:89], s[28:29], vcc
	s_andn2_b64 s[28:29], s[28:29], exec
	s_and_b64 s[88:89], s[88:89], exec
	s_or_b64 s[28:29], s[28:29], s[88:89]
.LBB4_344:                              ;   in Loop: Header=BB4_272 Depth=3
	s_or_b64 exec, exec, s[78:79]
	v_cmp_eq_u32_e32 vcc, 0, v0
	s_xor_b64 s[28:29], s[28:29], -1
	v_cndmask_b32_e32 v3, 0, v8, vcc
	v_cndmask_b32_e64 v0, 0, 1, s[28:29]
	s_mov_b64 s[88:89], -1
	v_cmp_ne_u32_e32 vcc, 0, v0
	v_mov_b32_e32 v4, 0
	v_mov_b32_e32 v5, v3
	;; [unrolled: 1-line block ×3, first 2 shown]
	s_cbranch_vccz .LBB4_351
; %bb.345:                              ;   in Loop: Header=BB4_272 Depth=3
	s_and_saveexec_b64 s[28:29], s[88:89]
	s_cbranch_execnz .LBB4_362
	s_branch .LBB4_370
.LBB4_346:                              ;   in Loop: Header=BB4_272 Depth=3
	s_mov_b64 s[28:29], 0
	s_and_saveexec_b64 s[78:79], s[10:11]
	s_cbranch_execnz .LBB4_371
.LBB4_347:                              ;   in Loop: Header=BB4_272 Depth=3
	s_or_b64 exec, exec, s[78:79]
                                        ; implicit-def: $vgpr0
	s_and_saveexec_b64 s[78:79], s[24:25]
	s_xor_b64 s[78:79], exec, s[78:79]
	s_cbranch_execz .LBB4_389
.LBB4_348:                              ;   in Loop: Header=BB4_272 Depth=3
	v_and_b32_e32 v1, 16, v59
	v_cmp_ne_u32_e32 vcc, 0, v1
	v_and_b32_e32 v0, 16, v59
	s_and_b64 s[88:89], vcc, s[28:29]
	s_and_saveexec_b64 s[28:29], s[88:89]
	s_cbranch_execz .LBB4_350
; %bb.349:                              ;   in Loop: Header=BB4_272 Depth=3
	v_mov_b32_e32 v0, 1
	s_waitcnt vmcnt(0) lgkmcnt(0)
	buffer_wbinvl1_vol
.LBB4_350:                              ;   in Loop: Header=BB4_272 Depth=3
	s_or_b64 exec, exec, s[28:29]
	s_andn2_saveexec_b64 s[28:29], s[78:79]
	s_cbranch_execz .LBB4_408
	s_branch .LBB4_390
.LBB4_351:                              ;   in Loop: Header=BB4_272 Depth=3
	v_ashrrev_i32_e32 v0, 31, v3
	v_lshrrev_b32_e32 v0, 21, v0
	v_add_u32_e32 v0, v3, v0
	v_ashrrev_i32_e32 v4, 11, v0
	buffer_load_dword v0, off, s[0:3], s33 offset:124 ; 4-byte Folded Reload
	s_waitcnt vmcnt(0)
	v_sub_u32_e32 v19, v4, v0
	v_cmp_lt_i32_e32 vcc, 0, v19
	s_and_saveexec_b64 s[28:29], vcc
	s_cbranch_execz .LBB4_355
; %bb.352:                              ;   in Loop: Header=BB4_272 Depth=3
	s_trap 2
	buffer_load_dword v2, off, s[0:3], s33 offset:180 ; 4-byte Folded Reload
	ds_read_b64 v[0:1], v0
	s_mov_b64 s[78:79], 0
	s_waitcnt vmcnt(0)
	v_add_co_u32_e32 v52, vcc, v14, v2
	v_addc_co_u32_e32 v53, vcc, 0, v15, vcc
	s_waitcnt lgkmcnt(0)
	v_add_co_u32_e32 v54, vcc, v0, v2
	v_addc_co_u32_e32 v55, vcc, 0, v1, vcc
	v_add_co_u32_e32 v40, vcc, v12, v2
	v_addc_co_u32_e32 v41, vcc, 0, v13, vcc
.LBB4_353:                              ;   Parent Loop BB4_47 Depth=1
                                        ;     Parent Loop BB4_269 Depth=2
                                        ;       Parent Loop BB4_272 Depth=3
                                        ; =>      This Inner Loop Header: Depth=4
	global_load_dwordx4 v[24:27], v[52:53], off glc slc
	global_load_dwordx4 v[35:38], v[52:53], off offset:1024 glc slc
	global_load_dwordx4 v[44:47], v[54:55], off glc slc
	global_load_dwordx4 v[48:51], v[54:55], off offset:1024 glc slc
	v_add_co_u32_e32 v52, vcc, v52, v30
	v_addc_co_u32_e32 v53, vcc, 0, v53, vcc
	v_add_co_u32_e32 v54, vcc, v54, v30
	v_addc_co_u32_e32 v55, vcc, 0, v55, vcc
	v_sub_u32_e32 v19, v19, v39
	s_waitcnt vmcnt(3)
	v_and_b32_e32 v0, 0xff00ff, v24
	s_waitcnt vmcnt(1)
	v_and_b32_e32 v1, 0xff00ff, v44
	v_add_u32_e32 v0, v1, v0
	v_and_b32_e32 v1, 0xff00ff00, v24
	v_and_b32_e32 v5, 0xff00ff00, v44
	v_add_u32_e32 v1, v5, v1
	v_perm_b32 v24, v1, v0, s64
	v_and_b32_e32 v0, 0xff00ff, v25
	v_and_b32_e32 v1, 0xff00ff, v45
	v_add_u32_e32 v0, v1, v0
	v_and_b32_e32 v1, 0xff00ff00, v25
	v_and_b32_e32 v5, 0xff00ff00, v45
	v_add_u32_e32 v1, v5, v1
	v_perm_b32 v25, v1, v0, s64
	v_and_b32_e32 v0, 0xff00ff, v26
	;; [unrolled: 7-line block ×4, first 2 shown]
	s_waitcnt vmcnt(0)
	v_and_b32_e32 v1, 0xff00ff, v48
	v_add_u32_e32 v0, v1, v0
	v_and_b32_e32 v1, 0xff00ff00, v35
	v_and_b32_e32 v5, 0xff00ff00, v48
	v_add_u32_e32 v1, v5, v1
	v_perm_b32 v35, v1, v0, s64
	v_and_b32_e32 v0, 0xff00ff, v36
	v_and_b32_e32 v1, 0xff00ff, v49
	v_add_u32_e32 v0, v1, v0
	v_and_b32_e32 v1, 0xff00ff00, v36
	v_and_b32_e32 v5, 0xff00ff00, v49
	v_add_u32_e32 v1, v5, v1
	v_perm_b32 v36, v1, v0, s64
	v_and_b32_e32 v0, 0xff00ff, v37
	;; [unrolled: 7-line block ×3, first 2 shown]
	v_and_b32_e32 v1, 0xff00ff, v51
	v_add_u32_e32 v0, v1, v0
	v_and_b32_e32 v1, 0xff00ff00, v38
	v_and_b32_e32 v5, 0xff00ff00, v51
	v_add_u32_e32 v1, v5, v1
	v_perm_b32 v38, v1, v0, s64
	global_store_dwordx4 v[40:41], v[24:27], off glc slc
	global_store_dwordx4 v[40:41], v[35:38], off offset:1024 glc slc
	v_add_co_u32_e32 v40, vcc, v40, v30
	v_addc_co_u32_e32 v41, vcc, 0, v41, vcc
	v_cmp_gt_i32_e32 vcc, 1, v19
	s_or_b64 s[78:79], vcc, s[78:79]
	s_andn2_b64 exec, exec, s[78:79]
	s_cbranch_execnz .LBB4_353
; %bb.354:                              ;   in Loop: Header=BB4_272 Depth=3
	s_or_b64 exec, exec, s[78:79]
	buffer_load_dword v24, off, s[0:3], s33 offset:92 ; 4-byte Folded Reload
	buffer_load_dword v25, off, s[0:3], s33 offset:96 ; 4-byte Folded Reload
	;; [unrolled: 1-line block ×11, first 2 shown]
	v_mov_b32_e32 v45, 1
	v_mov_b32_e32 v50, 0xc8
	;; [unrolled: 1-line block ×3, first 2 shown]
	s_waitcnt vmcnt(9)
	v_mov_b32_e32 v16, v24
	v_mov_b32_e32 v17, v25
.LBB4_355:                              ;   in Loop: Header=BB4_272 Depth=3
	s_or_b64 exec, exec, s[28:29]
	v_lshlrev_b32_e32 v0, 11, v4
	v_cmp_ne_u32_e32 vcc, v3, v0
	s_mov_b64 s[88:89], 0
	v_mov_b32_e32 v4, 0
                                        ; implicit-def: $vgpr5
                                        ; implicit-def: $vgpr9
	s_and_saveexec_b64 s[78:79], vcc
	s_cbranch_execz .LBB4_361
; %bb.356:                              ;   in Loop: Header=BB4_272 Depth=3
	buffer_load_dword v2, off, s[0:3], s33 offset:160 ; 4-byte Folded Reload
	v_lshlrev_b32_e32 v1, 6, v19
	v_sub_u32_e32 v5, v3, v0
	s_waitcnt vmcnt(0)
	v_sub_u32_e32 v1, v2, v1
	v_ashrrev_i32_e32 v4, 31, v1
	v_lshrrev_b32_e32 v4, 26, v4
	v_add_u32_e32 v4, v1, v4
	v_ashrrev_i32_e32 v6, 6, v4
	v_and_b32_e32 v4, 0xffffffc0, v4
	v_sub_u32_e32 v9, v1, v4
	v_ashrrev_i32_e32 v4, 31, v5
	v_lshrrev_b32_e32 v4, 22, v4
	v_lshlrev_b32_e32 v1, 4, v9
	v_add_u32_e32 v4, v5, v4
	v_lshl_add_u32 v1, v6, 10, v1
	v_ashrrev_i32_e32 v19, 10, v4
	v_and_b32_e32 v4, 0xfffffc00, v4
	v_sub_u32_e32 v30, v5, v1
	v_sub_u32_e32 v5, v5, v4
	v_cmp_lt_i32_e32 vcc, 15, v5
	v_addc_co_u32_e64 v19, s[28:29], 0, v19, vcc
	v_sub_u32_e32 v19, v19, v6
	v_cmp_lt_i32_e64 s[28:29], 15, v30
	s_and_saveexec_b64 s[88:89], s[28:29]
	s_cbranch_execz .LBB4_360
; %bb.357:                              ;   in Loop: Header=BB4_272 Depth=3
	s_trap 2
	ds_read_b64 v[24:25], v0
	v_add_u32_e32 v1, v1, v0
	v_ashrrev_i32_e32 v6, 31, v1
	v_add_co_u32_e64 v52, s[28:29], v1, v14
	v_addc_co_u32_e64 v53, s[28:29], v6, v15, s[28:29]
	s_waitcnt lgkmcnt(0)
	v_add_co_u32_e64 v54, s[28:29], v24, v1
	v_addc_co_u32_e64 v55, s[28:29], v25, v6, s[28:29]
	v_add_co_u32_e64 v40, s[28:29], v1, v12
	v_addc_co_u32_e64 v41, s[28:29], v6, v13, s[28:29]
	s_mov_b64 s[90:91], 0
.LBB4_358:                              ;   Parent Loop BB4_47 Depth=1
                                        ;     Parent Loop BB4_269 Depth=2
                                        ;       Parent Loop BB4_272 Depth=3
                                        ; =>      This Inner Loop Header: Depth=4
	global_load_dwordx4 v[24:27], v[52:53], off glc slc
	global_load_dwordx4 v[35:38], v[54:55], off glc slc
	v_add_co_u32_e64 v52, s[28:29], v52, v51
	v_addc_co_u32_e64 v53, s[28:29], 0, v53, s[28:29]
	v_add_co_u32_e64 v54, s[28:29], v54, v51
	v_addc_co_u32_e64 v55, s[28:29], 0, v55, s[28:29]
	v_sub_u32_e32 v30, v30, v51
	s_waitcnt vmcnt(1)
	v_and_b32_e32 v48, 0xff00ff, v24
	s_waitcnt vmcnt(0)
	v_and_b32_e32 v1, 0xff00ff, v35
	v_and_b32_e32 v6, 0xff00ff00, v35
	;; [unrolled: 1-line block ×3, first 2 shown]
	v_add_u32_e32 v1, v1, v48
	v_add_u32_e32 v6, v6, v24
	v_and_b32_e32 v31, 0xff00ff, v36
	v_and_b32_e32 v35, 0xff00ff00, v36
	v_perm_b32 v24, v6, v1, s64
	v_and_b32_e32 v1, 0xff00ff, v25
	v_and_b32_e32 v6, 0xff00ff00, v25
	v_add_u32_e32 v1, v31, v1
	v_add_u32_e32 v6, v35, v6
	v_and_b32_e32 v36, 0xff00ff, v37
	v_and_b32_e32 v37, 0xff00ff00, v37
	v_perm_b32 v25, v6, v1, s64
	v_and_b32_e32 v1, 0xff00ff, v26
	v_and_b32_e32 v6, 0xff00ff00, v26
	v_add_u32_e32 v1, v36, v1
	v_add_u32_e32 v6, v37, v6
	v_and_b32_e32 v39, 0xff00ff, v38
	v_perm_b32 v26, v6, v1, s64
	v_and_b32_e32 v1, 0xff00ff, v27
	v_add_u32_e32 v1, v39, v1
	buffer_load_dword v39, off, s[0:3], s33 offset:56 ; 4-byte Folded Reload
	v_and_b32_e32 v38, 0xff00ff00, v38
	v_and_b32_e32 v6, 0xff00ff00, v27
	v_add_u32_e32 v6, v38, v6
	v_perm_b32 v27, v6, v1, s64
	global_store_dwordx4 v[40:41], v[24:27], off glc slc
	v_add_co_u32_e64 v40, s[28:29], v40, v51
	v_addc_co_u32_e64 v41, s[28:29], 0, v41, s[28:29]
	v_cmp_gt_i32_e64 s[28:29], 16, v30
	s_or_b64 s[90:91], s[28:29], s[90:91]
	s_waitcnt vmcnt(1)
	v_sub_u32_e32 v19, v19, v39
	s_andn2_b64 exec, exec, s[90:91]
	s_cbranch_execnz .LBB4_358
; %bb.359:                              ;   in Loop: Header=BB4_272 Depth=3
	s_or_b64 exec, exec, s[90:91]
	buffer_load_dword v24, off, s[0:3], s33 offset:92 ; 4-byte Folded Reload
	buffer_load_dword v25, off, s[0:3], s33 offset:96 ; 4-byte Folded Reload
	;; [unrolled: 1-line block ×9, first 2 shown]
	v_mov_b32_e32 v50, 0xc8
	v_mov_b32_e32 v54, 0x90
	s_waitcnt vmcnt(7)
	v_mov_b32_e32 v16, v24
	v_mov_b32_e32 v17, v25
.LBB4_360:                              ;   in Loop: Header=BB4_272 Depth=3
	s_or_b64 exec, exec, s[88:89]
	v_and_b32_e32 v1, 15, v3
	v_sub_u32_e32 v6, v5, v1
	v_cndmask_b32_e32 v6, 0, v6, vcc
	v_cndmask_b32_e32 v5, v5, v1, vcc
	v_cmp_lt_i32_e32 vcc, 0, v19
	v_add3_u32 v4, v4, v0, v6
	v_cndmask_b32_e32 v0, 0, v39, vcc
	v_sub_u32_e32 v0, v0, v19
	v_cmp_ne_u32_e32 vcc, 0, v5
	v_lshl_add_u32 v9, v0, 6, v9
	s_and_b64 s[88:89], vcc, exec
.LBB4_361:                              ;   in Loop: Header=BB4_272 Depth=3
	s_or_b64 exec, exec, s[78:79]
	s_and_saveexec_b64 s[28:29], s[88:89]
	s_cbranch_execz .LBB4_370
.LBB4_362:                              ;   in Loop: Header=BB4_272 Depth=3
	v_ashrrev_i32_e32 v0, 31, v9
	v_ashrrev_i32_e32 v1, 31, v5
	v_lshrrev_b32_e32 v0, 26, v0
	v_lshrrev_b32_e32 v1, 22, v1
	v_add_u32_e32 v0, v9, v0
	v_add_u32_e32 v1, v5, v1
	v_ashrrev_i32_e32 v19, 6, v0
	v_ashrrev_i32_e32 v38, 10, v1
	s_waitcnt vmcnt(0)
	v_sub_u32_e32 v30, v38, v19
	v_cmp_lt_i32_e32 vcc, 0, v30
	s_and_saveexec_b64 s[78:79], vcc
	s_cbranch_execz .LBB4_366
; %bb.363:                              ;   in Loop: Header=BB4_272 Depth=3
	v_and_b32_e32 v0, 0xffffffc0, v0
	v_sub_u32_e32 v0, v9, v0
	v_lshlrev_b32_e32 v1, 10, v19
	buffer_store_dword v34, off, s[0:3], s33 offset:152 ; 4-byte Folded Spill
	s_nop 0
	buffer_store_dword v35, off, s[0:3], s33 offset:156 ; 4-byte Folded Spill
	v_add3_u32 v6, v4, v0, v1
	s_trap 2
	ds_read_b64 v[0:1], v0
	v_ashrrev_i32_e32 v24, 31, v6
	v_add_co_u32_e32 v14, vcc, v6, v14
	v_addc_co_u32_e32 v15, vcc, v24, v15, vcc
	s_waitcnt lgkmcnt(0)
	v_add_co_u32_e32 v52, vcc, v0, v6
	v_addc_co_u32_e32 v53, vcc, v1, v24, vcc
	v_add_co_u32_e32 v0, vcc, 0x3c0, v12
	v_addc_co_u32_e32 v1, vcc, 0, v13, vcc
	;; [unrolled: 2-line block ×3, first 2 shown]
	s_mov_b64 s[88:89], 0
.LBB4_364:                              ;   Parent Loop BB4_47 Depth=1
                                        ;     Parent Loop BB4_269 Depth=2
                                        ;       Parent Loop BB4_272 Depth=3
                                        ; =>      This Inner Loop Header: Depth=4
	flat_load_ubyte v0, v[14:15] glc slc
	flat_load_ubyte v1, v[14:15] offset:64 glc slc
	flat_load_ubyte v6, v[14:15] offset:128 glc slc
	;; [unrolled: 1-line block ×4, first 2 shown]
	s_waitcnt vmcnt(0)
	flat_load_ubyte v26, v[14:15] offset:320 glc slc
	flat_load_ubyte v27, v[14:15] offset:384 glc slc
	;; [unrolled: 1-line block ×11, first 2 shown]
	flat_load_ubyte v39, v[52:53] glc slc
	flat_load_ubyte v50, v[52:53] offset:64 glc slc
	flat_load_ubyte v51, v[52:53] offset:128 glc slc
	;; [unrolled: 1-line block ×15, first 2 shown]
	s_waitcnt vmcnt(0) lgkmcnt(0)
	v_add_u16_e32 v18, v39, v0
	v_add_u16_e32 v2, v50, v1
	;; [unrolled: 1-line block ×4, first 2 shown]
	v_add_co_u32_e32 v24, vcc, s65, v12
	v_add_u16_e32 v44, v44, v25
	v_addc_co_u32_e32 v25, vcc, -1, v13, vcc
	flat_store_byte v[24:25], v18 glc slc
	v_add_co_u32_e32 v24, vcc, s66, v12
	v_addc_co_u32_e32 v25, vcc, -1, v13, vcc
	flat_store_byte v[24:25], v2 glc slc
	v_add_co_u32_e32 v24, vcc, s67, v12
	;; [unrolled: 3-line block ×5, first 2 shown]
	v_add_u16_e32 v26, v45, v26
	v_addc_co_u32_e32 v25, vcc, -1, v13, vcc
	flat_store_byte v[24:25], v26 glc slc
	v_add_co_u32_e32 v24, vcc, s71, v12
	v_add_u16_e32 v27, v46, v27
	v_addc_co_u32_e32 v25, vcc, -1, v13, vcc
	flat_store_byte v[24:25], v27 glc slc
	v_add_co_u32_e32 v24, vcc, s80, v12
	;; [unrolled: 4-line block ×3, first 2 shown]
	v_add_u16_e32 v51, v56, v35
	v_addc_co_u32_e32 v25, vcc, -1, v13, vcc
	flat_store_byte v[24:25], v51 glc slc
	buffer_load_dword v51, off, s[0:3], s33 offset:60 ; 4-byte Folded Reload
	v_add_co_u32_e32 v24, vcc, s82, v12
	v_add_u16_e32 v50, v57, v36
	v_addc_co_u32_e32 v25, vcc, -1, v13, vcc
	flat_store_byte v[24:25], v50 glc slc
	v_add_co_u32_e32 v24, vcc, s83, v12
	v_add_u16_e32 v39, v58, v37
	v_addc_co_u32_e32 v25, vcc, -1, v13, vcc
	flat_store_byte v[24:25], v39 glc slc
	buffer_load_dword v39, off, s[0:3], s33 offset:56 ; 4-byte Folded Reload
	v_add_co_u32_e32 v24, vcc, s84, v12
	v_add_u16_e32 v36, v61, v48
	v_addc_co_u32_e32 v25, vcc, -1, v13, vcc
	flat_store_byte v[24:25], v36 glc slc
	v_add_co_u32_e32 v24, vcc, s85, v12
	v_add_u16_e32 v35, v60, v49
	v_addc_co_u32_e32 v25, vcc, -1, v13, vcc
	flat_store_byte v[24:25], v35 glc slc
	;; [unrolled: 4-line block ×3, first 2 shown]
	v_add_co_u32_e32 v24, vcc, s54, v12
	v_addc_co_u32_e32 v25, vcc, -1, v13, vcc
	v_add_u16_e32 v0, v16, v40
	v_add_u16_e32 v1, v34, v41
	flat_store_byte v[24:25], v0 glc slc
	flat_store_byte v[12:13], v1 glc slc
	s_waitcnt vmcnt(0)
	v_add_co_u32_e32 v14, vcc, v14, v51
	v_addc_co_u32_e32 v15, vcc, 0, v15, vcc
	v_add_co_u32_e32 v52, vcc, v52, v51
	v_addc_co_u32_e32 v53, vcc, 0, v53, vcc
	;; [unrolled: 2-line block ×3, first 2 shown]
	v_sub_u32_e32 v30, v30, v39
	v_cmp_gt_i32_e32 vcc, 1, v30
	s_or_b64 s[88:89], vcc, s[88:89]
	s_andn2_b64 exec, exec, s[88:89]
	s_cbranch_execnz .LBB4_364
; %bb.365:                              ;   in Loop: Header=BB4_272 Depth=3
	s_or_b64 exec, exec, s[88:89]
	buffer_load_dword v60, off, s[0:3], s33 offset:192 ; 4-byte Folded Reload
	buffer_load_dword v12, off, s[0:3], s33 offset:92 ; 4-byte Folded Reload
	;; [unrolled: 1-line block ×18, first 2 shown]
	v_mov_b32_e32 v45, 1
	v_mov_b32_e32 v50, 0xc8
	v_mov_b32_e32 v54, 0x90
	s_waitcnt vmcnt(0)
	v_mov_b32_e32 v17, v13
	v_mov_b32_e32 v16, v12
.LBB4_366:                              ;   in Loop: Header=BB4_272 Depth=3
	s_or_b64 exec, exec, s[78:79]
	v_lshlrev_b32_e32 v0, 10, v38
	v_cmp_ne_u32_e32 vcc, v5, v0
	s_and_b64 exec, exec, vcc
	s_cbranch_execz .LBB4_370
; %bb.367:                              ;   in Loop: Header=BB4_272 Depth=3
	v_lshlrev_b32_e32 v1, 6, v19
	v_sub_u32_e32 v1, v9, v1
	v_lshlrev_b32_e32 v2, 6, v30
	v_sub_u32_e32 v1, v1, v2
	v_add_u32_e32 v1, v0, v1
	v_sub_u32_e32 v0, v5, v1
	v_cmp_lt_i32_e32 vcc, 0, v0
	s_and_b64 exec, exec, vcc
	s_cbranch_execz .LBB4_370
; %bb.368:                              ;   in Loop: Header=BB4_272 Depth=3
	s_trap 2
	ds_read_b128 v[12:15], v0
	v_add_u32_e32 v1, v1, v4
	ds_read_b64 v[4:5], v0
	v_ashrrev_i32_e32 v2, 31, v1
	s_mov_b64 s[78:79], 0
	s_waitcnt lgkmcnt(0)
	v_add_co_u32_e32 v12, vcc, v12, v1
	v_addc_co_u32_e32 v13, vcc, v13, v2, vcc
	v_add_co_u32_e32 v14, vcc, v14, v1
	v_addc_co_u32_e32 v15, vcc, v15, v2, vcc
	;; [unrolled: 2-line block ×3, first 2 shown]
.LBB4_369:                              ;   Parent Loop BB4_47 Depth=1
                                        ;     Parent Loop BB4_269 Depth=2
                                        ;       Parent Loop BB4_272 Depth=3
                                        ; =>      This Inner Loop Header: Depth=4
	flat_load_ubyte v1, v[12:13] glc slc
	flat_load_ubyte v2, v[14:15] glc slc
	s_waitcnt vmcnt(0)
	v_add_co_u32_e32 v12, vcc, v12, v31
	v_addc_co_u32_e32 v13, vcc, 0, v13, vcc
	v_add_co_u32_e32 v14, vcc, v14, v31
	v_addc_co_u32_e32 v15, vcc, 0, v15, vcc
	v_sub_u32_e32 v0, v0, v31
	v_cmp_gt_i32_e32 vcc, 1, v0
	s_or_b64 s[78:79], vcc, s[78:79]
	s_waitcnt lgkmcnt(0)
	v_add_u16_e32 v1, v2, v1
	flat_store_byte v[52:53], v1 glc slc
	v_add_co_u32_e32 v52, vcc, v52, v31
	v_addc_co_u32_e32 v53, vcc, 0, v53, vcc
	s_andn2_b64 exec, exec, s[78:79]
	s_cbranch_execnz .LBB4_369
.LBB4_370:                              ;   in Loop: Header=BB4_272 Depth=3
	s_or_b64 exec, exec, s[28:29]
	buffer_load_dword v30, off, s[0:3], s33 offset:68 ; 4-byte Folded Reload
	v_cmp_lt_i32_e64 s[28:29], 0, v3
	s_and_saveexec_b64 s[78:79], s[10:11]
	s_cbranch_execz .LBB4_347
.LBB4_371:                              ;   in Loop: Header=BB4_272 Depth=3
	s_and_saveexec_b64 s[88:89], s[56:57]
	s_xor_b64 s[88:89], exec, s[88:89]
	s_cbranch_execz .LBB4_386
; %bb.372:                              ;   in Loop: Header=BB4_272 Depth=3
	s_and_saveexec_b64 s[90:91], s[16:17]
	s_cbranch_execz .LBB4_385
; %bb.373:                              ;   in Loop: Header=BB4_272 Depth=3
	s_mov_b64 s[94:95], exec
	v_mbcnt_lo_u32_b32 v0, s94, 0
	v_mbcnt_hi_u32_b32 v0, s95, v0
	v_cmp_eq_u32_e32 vcc, 0, v0
	s_waitcnt vmcnt(0) lgkmcnt(0)
	buffer_wbinvl1_vol
	s_and_saveexec_b64 s[92:93], vcc
	s_cbranch_execz .LBB4_375
; %bb.374:                              ;   in Loop: Header=BB4_272 Depth=3
	s_bcnt1_i32_b64 s8, s[94:95]
	v_mov_b32_e32 v0, s8
	v_mov_b32_e32 v1, v34
	ds_add_u64 v0, v[0:1]
	s_trap 2
.LBB4_375:                              ;   in Loop: Header=BB4_272 Depth=3
	s_or_b64 exec, exec, s[92:93]
	s_trap 2
	ds_read_b64 v[0:1], v0
	s_waitcnt lgkmcnt(0)
	v_add_co_u32_e32 v28, vcc, v28, v39
	v_addc_co_u32_e32 v29, vcc, 0, v29, vcc
	v_cmp_lt_u64_e32 vcc, v[0:1], v[28:29]
	s_and_saveexec_b64 s[92:93], vcc
	s_cbranch_execz .LBB4_384
; %bb.376:                              ;   in Loop: Header=BB4_272 Depth=3
	s_mov_b32 s8, 0
	s_mov_b64 s[94:95], 0
                                        ; implicit-def: $sgpr30_sgpr31
                                        ; implicit-def: $sgpr34_sgpr35
	s_branch .LBB4_378
.LBB4_377:                              ;   in Loop: Header=BB4_378 Depth=4
	s_or_b64 exec, exec, s[38:39]
	s_and_b64 vcc, exec, vcc
	s_or_b64 s[94:95], vcc, s[94:95]
	s_andn2_b64 vcc, s[30:31], exec
	s_and_b64 s[30:31], s[34:35], exec
	s_or_b64 s[30:31], vcc, s[30:31]
	s_andn2_b64 exec, exec, s[94:95]
	s_cbranch_execz .LBB4_382
.LBB4_378:                              ;   Parent Loop BB4_47 Depth=1
                                        ;     Parent Loop BB4_269 Depth=2
                                        ;       Parent Loop BB4_272 Depth=3
                                        ; =>      This Inner Loop Header: Depth=4
	s_add_i32 s8, s8, 1
	s_cmpk_lg_i32 s8, 0x2710
	s_cselect_b64 s[36:37], -1, 0
	s_and_b64 vcc, exec, s[36:37]
	s_cbranch_vccz .LBB4_380
; %bb.379:                              ;   in Loop: Header=BB4_378 Depth=4
	s_mov_b64 vcc, -1
	s_or_b64 s[34:35], s[34:35], exec
	s_and_saveexec_b64 s[38:39], s[36:37]
	s_cbranch_execz .LBB4_377
	s_branch .LBB4_381
.LBB4_380:                              ;   in Loop: Header=BB4_378 Depth=4
	s_trap 2
	ds_read_b64 v[0:1], v0
	s_andn2_b64 s[36:37], s[36:37], exec
	s_mov_b32 s8, 0
	s_waitcnt lgkmcnt(0)
	flat_load_dword v0, v[0:1] glc
	s_waitcnt vmcnt(0) lgkmcnt(0)
	buffer_wbinvl1_vol
	v_cmp_eq_u32_e32 vcc, 0, v0
	s_and_b64 vcc, vcc, exec
	s_or_b64 s[36:37], s[36:37], vcc
	s_mov_b64 vcc, -1
	s_or_b64 s[34:35], s[34:35], exec
	s_and_saveexec_b64 s[38:39], s[36:37]
	s_cbranch_execz .LBB4_377
.LBB4_381:                              ;   in Loop: Header=BB4_378 Depth=4
	s_sleep 1
	s_trap 2
	ds_read_b64 v[0:1], v0
	s_waitcnt lgkmcnt(0)
	s_andn2_b64 s[34:35], s[34:35], exec
	v_cmp_ge_u64_e32 vcc, v[0:1], v[28:29]
	s_orn2_b64 vcc, vcc, exec
	s_branch .LBB4_377
.LBB4_382:                              ;   in Loop: Header=BB4_272 Depth=3
	s_or_b64 exec, exec, s[94:95]
	s_and_saveexec_b64 s[94:95], s[30:31]
	s_xor_b64 s[94:95], exec, s[94:95]
	s_cbranch_execz .LBB4_384
; %bb.383:                              ;   in Loop: Header=BB4_272 Depth=3
	ds_write_b32 v0, v45
	s_trap 2
.LBB4_384:                              ;   in Loop: Header=BB4_272 Depth=3
	s_or_b64 exec, exec, s[92:93]
	;;#ASMSTART
	s_wakeup
	;;#ASMEND
.LBB4_385:                              ;   in Loop: Header=BB4_272 Depth=3
	s_or_b64 exec, exec, s[90:91]
.LBB4_386:                              ;   in Loop: Header=BB4_272 Depth=3
	s_andn2_saveexec_b64 s[88:89], s[88:89]
	s_cbranch_execz .LBB4_388
; %bb.387:                              ;   in Loop: Header=BB4_272 Depth=3
	s_waitcnt vmcnt(0) lgkmcnt(0)
	buffer_wbinvl1_vol
	s_barrier
.LBB4_388:                              ;   in Loop: Header=BB4_272 Depth=3
	s_or_b64 exec, exec, s[88:89]
	s_or_b64 exec, exec, s[78:79]
                                        ; implicit-def: $vgpr0
	s_and_saveexec_b64 s[78:79], s[24:25]
	s_xor_b64 s[78:79], exec, s[78:79]
	s_cbranch_execnz .LBB4_348
.LBB4_389:                              ;   in Loop: Header=BB4_272 Depth=3
	s_andn2_saveexec_b64 s[28:29], s[78:79]
	s_cbranch_execz .LBB4_408
.LBB4_390:                              ;   in Loop: Header=BB4_272 Depth=3
	s_and_saveexec_b64 s[78:79], s[56:57]
	s_xor_b64 s[78:79], exec, s[78:79]
	s_cbranch_execz .LBB4_405
; %bb.391:                              ;   in Loop: Header=BB4_272 Depth=3
	s_and_saveexec_b64 s[88:89], s[16:17]
	s_cbranch_execz .LBB4_404
; %bb.392:                              ;   in Loop: Header=BB4_272 Depth=3
	s_mov_b64 s[92:93], exec
	v_mbcnt_lo_u32_b32 v0, s92, 0
	v_mbcnt_hi_u32_b32 v0, s93, v0
	v_cmp_eq_u32_e32 vcc, 0, v0
	;;#ASMSTART
	s_waitcnt lgkmcnt(0) vmcnt(0)
	;;#ASMEND
	s_and_saveexec_b64 s[90:91], vcc
	s_cbranch_execz .LBB4_394
; %bb.393:                              ;   in Loop: Header=BB4_272 Depth=3
	s_bcnt1_i32_b64 s8, s[92:93]
	v_mov_b32_e32 v0, s8
	v_mov_b32_e32 v1, v34
	s_waitcnt lgkmcnt(0)
	ds_add_u64 v0, v[0:1]
	s_trap 2
.LBB4_394:                              ;   in Loop: Header=BB4_272 Depth=3
	s_or_b64 exec, exec, s[90:91]
	s_trap 2
	ds_read_b64 v[0:1], v0
	s_waitcnt lgkmcnt(0)
	v_add_co_u32_e32 v28, vcc, v28, v39
	v_addc_co_u32_e32 v29, vcc, 0, v29, vcc
	v_cmp_lt_u64_e32 vcc, v[0:1], v[28:29]
	s_and_saveexec_b64 s[90:91], vcc
	s_cbranch_execz .LBB4_403
; %bb.395:                              ;   in Loop: Header=BB4_272 Depth=3
	s_mov_b32 s8, 0
	s_mov_b64 s[92:93], 0
                                        ; implicit-def: $sgpr94_sgpr95
                                        ; implicit-def: $sgpr30_sgpr31
	s_branch .LBB4_397
.LBB4_396:                              ;   in Loop: Header=BB4_397 Depth=4
	s_or_b64 exec, exec, s[36:37]
	s_and_b64 vcc, exec, vcc
	s_or_b64 s[92:93], vcc, s[92:93]
	s_andn2_b64 s[94:95], s[94:95], exec
	s_and_b64 vcc, s[30:31], exec
	s_or_b64 s[94:95], s[94:95], vcc
	s_andn2_b64 exec, exec, s[92:93]
	s_cbranch_execz .LBB4_401
.LBB4_397:                              ;   Parent Loop BB4_47 Depth=1
                                        ;     Parent Loop BB4_269 Depth=2
                                        ;       Parent Loop BB4_272 Depth=3
                                        ; =>      This Inner Loop Header: Depth=4
	s_add_i32 s8, s8, 1
	s_cmpk_lg_i32 s8, 0x2710
	s_cselect_b64 s[34:35], -1, 0
	s_and_b64 vcc, exec, s[34:35]
	s_cbranch_vccz .LBB4_399
; %bb.398:                              ;   in Loop: Header=BB4_397 Depth=4
	s_mov_b64 vcc, -1
	s_or_b64 s[30:31], s[30:31], exec
	s_and_saveexec_b64 s[36:37], s[34:35]
	s_cbranch_execz .LBB4_396
	s_branch .LBB4_400
.LBB4_399:                              ;   in Loop: Header=BB4_397 Depth=4
	s_trap 2
	ds_read_b64 v[0:1], v0
	s_andn2_b64 s[34:35], s[34:35], exec
	s_mov_b32 s8, 0
	s_waitcnt vmcnt(0) lgkmcnt(0)
	flat_load_dword v0, v[0:1] glc
	s_waitcnt vmcnt(0) lgkmcnt(0)
	buffer_wbinvl1_vol
	v_cmp_eq_u32_e32 vcc, 0, v0
	s_and_b64 vcc, vcc, exec
	s_or_b64 s[34:35], s[34:35], vcc
	s_mov_b64 vcc, -1
	s_or_b64 s[30:31], s[30:31], exec
	s_and_saveexec_b64 s[36:37], s[34:35]
	s_cbranch_execz .LBB4_396
.LBB4_400:                              ;   in Loop: Header=BB4_397 Depth=4
	s_sleep 1
	s_trap 2
	ds_read_b64 v[0:1], v0
	s_waitcnt lgkmcnt(0)
	s_andn2_b64 s[30:31], s[30:31], exec
	v_cmp_ge_u64_e32 vcc, v[0:1], v[28:29]
	s_orn2_b64 vcc, vcc, exec
	s_branch .LBB4_396
.LBB4_401:                              ;   in Loop: Header=BB4_272 Depth=3
	s_or_b64 exec, exec, s[92:93]
	s_and_saveexec_b64 s[92:93], s[94:95]
	s_xor_b64 s[92:93], exec, s[92:93]
	s_cbranch_execz .LBB4_403
; %bb.402:                              ;   in Loop: Header=BB4_272 Depth=3
	ds_write_b32 v0, v45
	s_trap 2
.LBB4_403:                              ;   in Loop: Header=BB4_272 Depth=3
	s_or_b64 exec, exec, s[90:91]
	;;#ASMSTART
	s_wakeup
	;;#ASMEND
.LBB4_404:                              ;   in Loop: Header=BB4_272 Depth=3
	s_or_b64 exec, exec, s[88:89]
.LBB4_405:                              ;   in Loop: Header=BB4_272 Depth=3
	s_andn2_saveexec_b64 s[78:79], s[78:79]
	s_cbranch_execz .LBB4_407
; %bb.406:                              ;   in Loop: Header=BB4_272 Depth=3
	;;#ASMSTART
	s_waitcnt lgkmcnt(0) vmcnt(0)
	;;#ASMEND
	s_waitcnt vmcnt(0) lgkmcnt(0)
	s_barrier
.LBB4_407:                              ;   in Loop: Header=BB4_272 Depth=3
	s_or_b64 exec, exec, s[78:79]
	v_and_b32_e32 v0, 16, v59
.LBB4_408:                              ;   in Loop: Header=BB4_272 Depth=3
	s_or_b64 exec, exec, s[28:29]
	v_cmp_ne_u32_e32 vcc, 0, v0
	s_xor_b64 s[28:29], s[12:13], -1
	s_and_b64 s[78:79], vcc, s[28:29]
	s_and_saveexec_b64 s[28:29], s[78:79]
	s_cbranch_execz .LBB4_410
; %bb.409:                              ;   in Loop: Header=BB4_272 Depth=3
	s_waitcnt vmcnt(0)
	flat_store_dword v[46:47], v45
.LBB4_410:                              ;   in Loop: Header=BB4_272 Depth=3
	s_or_b64 exec, exec, s[28:29]
	v_and_b32_e32 v0, 48, v59
	v_cmp_ne_u32_e32 vcc, 0, v0
	s_and_saveexec_b64 s[28:29], vcc
	s_cbranch_execz .LBB4_271
; %bb.411:                              ;   in Loop: Header=BB4_272 Depth=3
	v_add_co_u32_e32 v20, vcc, 2, v20
	v_addc_co_u32_e32 v21, vcc, 0, v21, vcc
	flat_store_dwordx2 v[22:23], v[20:21]
	s_branch .LBB4_271
.LBB4_412:                              ;   in Loop: Header=BB4_269 Depth=2
	s_or_b64 exec, exec, s[42:43]
.LBB4_413:                              ;   in Loop: Header=BB4_269 Depth=2
	s_or_b64 exec, exec, s[40:41]
	v_cmp_gt_i32_e32 vcc, 2, v0
	s_and_saveexec_b64 s[40:41], vcc
	s_cbranch_execz .LBB4_268
; %bb.414:                              ;   in Loop: Header=BB4_269 Depth=2
	v_cmp_eq_u32_e64 s[76:77], 0, v0
	s_mov_b64 s[42:43], 0
	s_branch .LBB4_416
.LBB4_415:                              ;   in Loop: Header=BB4_416 Depth=3
	s_or_b64 exec, exec, s[28:29]
	v_add_u32_e32 v43, v8, v43
	s_mov_b64 s[76:77], 0
	s_andn2_b64 exec, exec, s[42:43]
	s_cbranch_execz .LBB4_267
.LBB4_416:                              ;   Parent Loop BB4_47 Depth=1
                                        ;     Parent Loop BB4_269 Depth=2
                                        ; =>    This Loop Header: Depth=3
                                        ;         Child Loop BB4_422 Depth 4
                                        ;         Child Loop BB4_450 Depth 4
	;; [unrolled: 1-line block ×3, first 2 shown]
	v_sub_u32_e32 v0, v42, v43
	v_min_i32_e32 v8, v8, v0
	v_and_b32_e32 v0, 12, v59
	v_cmp_ne_u32_e32 vcc, 0, v0
	s_and_saveexec_b64 s[78:79], vcc
	s_cbranch_execz .LBB4_442
; %bb.417:                              ;   in Loop: Header=BB4_416 Depth=3
	v_and_b32_e32 v0, 8, v59
	s_waitcnt vmcnt(0) lgkmcnt(0)
	v_add_co_u32_e32 v3, vcc, v32, v0
	v_addc_co_u32_e32 v4, vcc, 0, v33, vcc
	v_add_co_u32_e32 v10, vcc, 2, v20
	v_addc_co_u32_e32 v11, vcc, 0, v21, vcc
	v_cmp_lt_u64_e32 vcc, v[3:4], v[10:11]
	s_and_saveexec_b64 s[88:89], vcc
	s_cbranch_execz .LBB4_429
; %bb.418:                              ;   in Loop: Header=BB4_416 Depth=3
	v_and_b32_e32 v1, 64, v59
	s_mov_b32 s8, 0
	v_cmp_eq_u32_e32 vcc, 0, v1
	s_mov_b64 s[90:91], 0
                                        ; implicit-def: $sgpr92_sgpr93
                                        ; implicit-def: $sgpr94_sgpr95
                                        ; implicit-def: $sgpr30_sgpr31
	s_branch .LBB4_422
.LBB4_419:                              ;   in Loop: Header=BB4_422 Depth=4
	s_waitcnt vmcnt(0) lgkmcnt(0)
	v_add_co_u32_e64 v3, s[28:29], v32, v0
	v_addc_co_u32_e64 v4, s[28:29], 0, v33, s[28:29]
	v_cmp_ge_u64_e64 s[28:29], v[3:4], v[10:11]
	s_or_b64 s[38:39], s[38:39], exec
	s_orn2_b64 s[36:37], s[28:29], exec
.LBB4_420:                              ;   in Loop: Header=BB4_422 Depth=4
	s_or_b64 exec, exec, s[50:51]
	s_andn2_b64 s[28:29], s[30:31], exec
	s_and_b64 s[30:31], s[38:39], exec
	s_or_b64 s[30:31], s[28:29], s[30:31]
	s_andn2_b64 s[28:29], s[94:95], exec
	s_and_b64 s[94:95], s[36:37], exec
	s_or_b64 s[94:95], s[28:29], s[94:95]
.LBB4_421:                              ;   in Loop: Header=BB4_422 Depth=4
	s_or_b64 exec, exec, s[34:35]
	s_and_b64 s[28:29], exec, s[94:95]
	s_or_b64 s[90:91], s[28:29], s[90:91]
	s_andn2_b64 s[28:29], s[92:93], exec
	s_and_b64 s[92:93], s[30:31], exec
	s_or_b64 s[92:93], s[28:29], s[92:93]
	s_andn2_b64 exec, exec, s[90:91]
	s_cbranch_execz .LBB4_426
.LBB4_422:                              ;   Parent Loop BB4_47 Depth=1
                                        ;     Parent Loop BB4_269 Depth=2
                                        ;       Parent Loop BB4_416 Depth=3
                                        ; =>      This Inner Loop Header: Depth=4
	s_sleep 1
	s_waitcnt vmcnt(0) lgkmcnt(0)
	flat_load_dwordx2 v[32:33], v[22:23] glc
	s_or_b64 s[30:31], s[30:31], exec
	s_or_b64 s[94:95], s[94:95], exec
                                        ; implicit-def: $vgpr1
	s_and_saveexec_b64 s[34:35], vcc
	s_cbranch_execz .LBB4_421
; %bb.423:                              ;   in Loop: Header=BB4_422 Depth=4
	s_cmpk_lt_i32 s8, 0x270f
	s_cselect_b64 s[48:49], -1, 0
	s_cmpk_gt_i32 s8, 0x270e
	s_mov_b64 s[36:37], -1
	s_cbranch_scc0 .LBB4_425
; %bb.424:                              ;   in Loop: Header=BB4_422 Depth=4
	s_trap 2
	ds_read_b64 v[3:4], v0
	s_andn2_b64 s[48:49], s[48:49], exec
	s_mov_b32 s8, 0
	s_mov_b64 s[38:39], 0
	s_waitcnt vmcnt(0) lgkmcnt(0)
	flat_load_dword v1, v[3:4] glc
	s_waitcnt vmcnt(0) lgkmcnt(0)
	buffer_wbinvl1_vol
	v_cmp_eq_u32_e64 s[28:29], 0, v1
	s_and_b64 s[28:29], s[28:29], exec
	s_or_b64 s[48:49], s[48:49], s[28:29]
	s_and_saveexec_b64 s[50:51], s[48:49]
	s_cbranch_execz .LBB4_420
	s_branch .LBB4_419
.LBB4_425:                              ;   in Loop: Header=BB4_422 Depth=4
	s_add_i32 s8, s8, 1
	s_mov_b64 s[38:39], -1
                                        ; implicit-def: $vgpr1
	s_and_saveexec_b64 s[50:51], s[48:49]
	s_cbranch_execz .LBB4_420
	s_branch .LBB4_419
.LBB4_426:                              ;   in Loop: Header=BB4_416 Depth=3
	s_or_b64 exec, exec, s[90:91]
	s_xor_b64 s[28:29], s[92:93], -1
	s_and_saveexec_b64 s[90:91], s[28:29]
	s_xor_b64 s[28:29], exec, s[90:91]
	s_cbranch_execz .LBB4_428
; %bb.427:                              ;   in Loop: Header=BB4_416 Depth=3
	v_or_b32_e32 v59, 64, v59
	s_waitcnt lgkmcnt(0)
	ds_write_b32 v0, v1
	s_trap 2
.LBB4_428:                              ;   in Loop: Header=BB4_416 Depth=3
	s_or_b64 exec, exec, s[28:29]
.LBB4_429:                              ;   in Loop: Header=BB4_416 Depth=3
	s_or_b64 exec, exec, s[88:89]
	v_and_b32_e32 v1, 0x108, v59
	v_cmp_ne_u32_e32 vcc, s55, v1
	;;#ASMSTART
	s_wakeup
	;;#ASMEND
                                        ; implicit-def: $vgpr12_vgpr13
	s_and_saveexec_b64 s[28:29], vcc
	s_xor_b64 s[28:29], exec, s[28:29]
; %bb.430:                              ;   in Loop: Header=BB4_416 Depth=3
	v_and_b32_e32 v12, 7, v20
	v_mov_b32_e32 v13, v34
                                        ; implicit-def: $vgpr20_vgpr21
; %bb.431:                              ;   in Loop: Header=BB4_416 Depth=3
	s_andn2_saveexec_b64 s[28:29], s[28:29]
	s_cbranch_execz .LBB4_433
; %bb.432:                              ;   in Loop: Header=BB4_416 Depth=3
	v_and_b32_e32 v12, 7, v20
	v_mad_u64_u32 v[3:4], s[88:89], v12, 24, v[16:17]
	v_mov_b32_e32 v13, v34
	v_ashrrev_i32_e32 v9, 31, v8
	flat_store_dwordx2 v[3:4], v[8:9] offset:8
.LBB4_433:                              ;   in Loop: Header=BB4_416 Depth=3
	s_or_b64 exec, exec, s[28:29]
	v_and_b32_e32 v1, 0x100, v59
	v_cmp_ne_u32_e32 vcc, 0, v1
	s_mov_b64 s[28:29], -1
                                        ; implicit-def: $vgpr14_vgpr15
	s_and_saveexec_b64 s[88:89], vcc
	s_cbranch_execz .LBB4_437
; %bb.434:                              ;   in Loop: Header=BB4_416 Depth=3
	v_mad_u64_u32 v[48:49], s[28:29], v12, 24, v[16:17]
                                        ; implicit-def: $vgpr14_vgpr15
	v_mov_b32_e32 v1, v49
	v_mad_u64_u32 v[3:4], s[28:29], v13, 24, v[1:2]
	v_mov_b32_e32 v49, v3
	flat_load_dword v1, v[48:49]
	s_waitcnt vmcnt(0) lgkmcnt(0)
	v_cmp_ne_u32_e32 vcc, 1, v1
	v_cmp_eq_u32_e64 s[28:29], 1, v1
	s_and_saveexec_b64 s[90:91], s[28:29]
	s_cbranch_execz .LBB4_436
; %bb.435:                              ;   in Loop: Header=BB4_416 Depth=3
	flat_load_dword v14, v[48:49] offset:4 glc
	s_waitcnt vmcnt(0) lgkmcnt(0)
	v_ashrrev_i32_e32 v15, 31, v14
.LBB4_436:                              ;   in Loop: Header=BB4_416 Depth=3
	s_or_b64 exec, exec, s[90:91]
	s_orn2_b64 s[28:29], vcc, exec
.LBB4_437:                              ;   in Loop: Header=BB4_416 Depth=3
	s_or_b64 exec, exec, s[88:89]
	s_and_saveexec_b64 s[88:89], s[28:29]
	s_cbranch_execz .LBB4_439
; %bb.438:                              ;   in Loop: Header=BB4_416 Depth=3
	v_mul_lo_u32 v1, v13, v61
	v_mul_lo_u32 v2, v12, v58
	v_mad_u64_u32 v[14:15], s[28:29], v12, v61, 0
	v_add3_u32 v15, v15, v2, v1
.LBB4_439:                              ;   in Loop: Header=BB4_416 Depth=3
	s_or_b64 exec, exec, s[88:89]
	v_cmp_eq_u32_e32 vcc, 0, v0
	v_cndmask_b32_e32 v2, v50, v54, vcc
	v_add_co_u32_e32 v0, vcc, v56, v14
	v_addc_co_u32_e32 v1, vcc, v57, v15, vcc
	v_add_u32_e32 v2, v0, v2
	ds_write_b64 v2, v[0:1] offset:584
	v_and_b32_e32 v0, 0x2000, v59
	v_cmp_ne_u32_e32 vcc, 0, v0
	s_and_saveexec_b64 s[28:29], vcc
	s_cbranch_execz .LBB4_441
; %bb.440:                              ;   in Loop: Header=BB4_416 Depth=3
	ds_read_b64 v[0:1], v0 offset:872
	s_waitcnt lgkmcnt(0)
	v_add_co_u32_e32 v0, vcc, 1, v0
	v_addc_co_u32_e32 v1, vcc, 0, v1, vcc
	ds_write_b64 v0, v[0:1] offset:872
.LBB4_441:                              ;   in Loop: Header=BB4_416 Depth=3
	s_or_b64 exec, exec, s[28:29]
	v_mov_b32_e32 v21, v11
	v_mov_b32_e32 v20, v10
.LBB4_442:                              ;   in Loop: Header=BB4_416 Depth=3
	s_or_b64 exec, exec, s[78:79]
	s_xor_b64 s[28:29], s[76:77], -1
	s_and_b64 s[28:29], exec, s[28:29]
	s_or_b64 s[42:43], s[28:29], s[42:43]
	s_and_saveexec_b64 s[28:29], s[10:11]
	s_cbranch_execz .LBB4_461
; %bb.443:                              ;   in Loop: Header=BB4_416 Depth=3
	s_and_saveexec_b64 s[76:77], s[56:57]
	s_xor_b64 s[76:77], exec, s[76:77]
	s_cbranch_execz .LBB4_458
; %bb.444:                              ;   in Loop: Header=BB4_416 Depth=3
	s_and_saveexec_b64 s[78:79], s[16:17]
	s_cbranch_execz .LBB4_457
; %bb.445:                              ;   in Loop: Header=BB4_416 Depth=3
	s_mov_b64 s[90:91], exec
	v_mbcnt_lo_u32_b32 v0, s90, 0
	v_mbcnt_hi_u32_b32 v0, s91, v0
	v_cmp_eq_u32_e32 vcc, 0, v0
	s_waitcnt vmcnt(0) lgkmcnt(0)
	buffer_wbinvl1_vol
	s_and_saveexec_b64 s[88:89], vcc
	s_cbranch_execz .LBB4_447
; %bb.446:                              ;   in Loop: Header=BB4_416 Depth=3
	s_bcnt1_i32_b64 s8, s[90:91]
	v_mov_b32_e32 v0, s8
	v_mov_b32_e32 v1, v34
	ds_add_u64 v0, v[0:1]
	s_trap 2
.LBB4_447:                              ;   in Loop: Header=BB4_416 Depth=3
	s_or_b64 exec, exec, s[88:89]
	s_trap 2
	ds_read_b64 v[0:1], v0
	s_waitcnt lgkmcnt(0)
	v_add_co_u32_e32 v28, vcc, v28, v39
	v_addc_co_u32_e32 v29, vcc, 0, v29, vcc
	v_cmp_lt_u64_e32 vcc, v[0:1], v[28:29]
	s_and_saveexec_b64 s[88:89], vcc
	s_cbranch_execz .LBB4_456
; %bb.448:                              ;   in Loop: Header=BB4_416 Depth=3
	s_mov_b32 s8, 0
	s_mov_b64 s[90:91], 0
                                        ; implicit-def: $sgpr92_sgpr93
                                        ; implicit-def: $sgpr94_sgpr95
	s_branch .LBB4_450
.LBB4_449:                              ;   in Loop: Header=BB4_450 Depth=4
	s_or_b64 exec, exec, s[34:35]
	s_and_b64 vcc, exec, vcc
	s_or_b64 s[90:91], vcc, s[90:91]
	s_andn2_b64 s[92:93], s[92:93], exec
	s_and_b64 vcc, s[94:95], exec
	s_or_b64 s[92:93], s[92:93], vcc
	s_andn2_b64 exec, exec, s[90:91]
	s_cbranch_execz .LBB4_454
.LBB4_450:                              ;   Parent Loop BB4_47 Depth=1
                                        ;     Parent Loop BB4_269 Depth=2
                                        ;       Parent Loop BB4_416 Depth=3
                                        ; =>      This Inner Loop Header: Depth=4
	s_add_i32 s8, s8, 1
	s_cmpk_lg_i32 s8, 0x2710
	s_cselect_b64 s[30:31], -1, 0
	s_and_b64 vcc, exec, s[30:31]
	s_cbranch_vccz .LBB4_452
; %bb.451:                              ;   in Loop: Header=BB4_450 Depth=4
	s_mov_b64 vcc, -1
	s_or_b64 s[94:95], s[94:95], exec
	s_and_saveexec_b64 s[34:35], s[30:31]
	s_cbranch_execz .LBB4_449
	s_branch .LBB4_453
.LBB4_452:                              ;   in Loop: Header=BB4_450 Depth=4
	s_trap 2
	ds_read_b64 v[0:1], v0
	s_andn2_b64 s[30:31], s[30:31], exec
	s_mov_b32 s8, 0
	s_waitcnt lgkmcnt(0)
	flat_load_dword v0, v[0:1] glc
	s_waitcnt vmcnt(0) lgkmcnt(0)
	buffer_wbinvl1_vol
	v_cmp_eq_u32_e32 vcc, 0, v0
	s_and_b64 vcc, vcc, exec
	s_or_b64 s[30:31], s[30:31], vcc
	s_mov_b64 vcc, -1
	s_or_b64 s[94:95], s[94:95], exec
	s_and_saveexec_b64 s[34:35], s[30:31]
	s_cbranch_execz .LBB4_449
.LBB4_453:                              ;   in Loop: Header=BB4_450 Depth=4
	s_sleep 1
	s_trap 2
	ds_read_b64 v[0:1], v0
	s_waitcnt lgkmcnt(0)
	s_andn2_b64 s[94:95], s[94:95], exec
	v_cmp_ge_u64_e32 vcc, v[0:1], v[28:29]
	s_orn2_b64 vcc, vcc, exec
	s_branch .LBB4_449
.LBB4_454:                              ;   in Loop: Header=BB4_416 Depth=3
	s_or_b64 exec, exec, s[90:91]
	s_and_saveexec_b64 s[90:91], s[92:93]
	s_xor_b64 s[90:91], exec, s[90:91]
	s_cbranch_execz .LBB4_456
; %bb.455:                              ;   in Loop: Header=BB4_416 Depth=3
	ds_write_b32 v0, v45
	s_trap 2
.LBB4_456:                              ;   in Loop: Header=BB4_416 Depth=3
	s_or_b64 exec, exec, s[88:89]
	;;#ASMSTART
	s_wakeup
	;;#ASMEND
.LBB4_457:                              ;   in Loop: Header=BB4_416 Depth=3
	s_or_b64 exec, exec, s[78:79]
.LBB4_458:                              ;   in Loop: Header=BB4_416 Depth=3
	s_andn2_saveexec_b64 s[76:77], s[76:77]
	s_cbranch_execz .LBB4_460
; %bb.459:                              ;   in Loop: Header=BB4_416 Depth=3
	s_waitcnt vmcnt(0) lgkmcnt(0)
	buffer_wbinvl1_vol
	s_barrier
.LBB4_460:                              ;   in Loop: Header=BB4_416 Depth=3
	s_or_b64 exec, exec, s[76:77]
.LBB4_461:                              ;   in Loop: Header=BB4_416 Depth=3
	s_or_b64 exec, exec, s[28:29]
                                        ; implicit-def: $vgpr0
	s_and_saveexec_b64 s[28:29], s[62:63]
	s_xor_b64 s[28:29], exec, s[28:29]
	s_cbranch_execz .LBB4_473
; %bb.462:                              ;   in Loop: Header=BB4_416 Depth=3
	s_and_saveexec_b64 s[76:77], s[56:57]
	s_xor_b64 s[76:77], exec, s[76:77]
	s_cbranch_execz .LBB4_478
; %bb.463:                              ;   in Loop: Header=BB4_416 Depth=3
	s_and_saveexec_b64 s[78:79], s[16:17]
	s_cbranch_execz .LBB4_477
; %bb.464:                              ;   in Loop: Header=BB4_416 Depth=3
	s_mov_b64 s[90:91], exec
	v_mbcnt_lo_u32_b32 v0, s90, 0
	v_mbcnt_hi_u32_b32 v0, s91, v0
	v_cmp_eq_u32_e32 vcc, 0, v0
	;;#ASMSTART
	s_waitcnt lgkmcnt(0) vmcnt(0)
	;;#ASMEND
	s_and_saveexec_b64 s[88:89], vcc
	s_cbranch_execz .LBB4_466
; %bb.465:                              ;   in Loop: Header=BB4_416 Depth=3
	s_bcnt1_i32_b64 s8, s[90:91]
	v_mov_b32_e32 v0, s8
	v_mov_b32_e32 v1, v34
	s_waitcnt lgkmcnt(0)
	ds_add_u64 v0, v[0:1]
	s_trap 2
.LBB4_466:                              ;   in Loop: Header=BB4_416 Depth=3
	s_or_b64 exec, exec, s[88:89]
	s_trap 2
	ds_read_b64 v[0:1], v0
	s_waitcnt lgkmcnt(0)
	v_add_co_u32_e32 v28, vcc, v28, v39
	v_addc_co_u32_e32 v29, vcc, 0, v29, vcc
	v_cmp_lt_u64_e32 vcc, v[0:1], v[28:29]
	s_and_saveexec_b64 s[88:89], vcc
	s_cbranch_execz .LBB4_476
; %bb.467:                              ;   in Loop: Header=BB4_416 Depth=3
	s_mov_b32 s8, 0
	s_mov_b64 s[90:91], 0
                                        ; implicit-def: $sgpr92_sgpr93
                                        ; implicit-def: $sgpr94_sgpr95
	s_branch .LBB4_469
.LBB4_468:                              ;   in Loop: Header=BB4_469 Depth=4
	s_or_b64 exec, exec, s[34:35]
	s_and_b64 vcc, exec, vcc
	s_or_b64 s[90:91], vcc, s[90:91]
	s_andn2_b64 s[92:93], s[92:93], exec
	s_and_b64 vcc, s[94:95], exec
	s_or_b64 s[92:93], s[92:93], vcc
	s_andn2_b64 exec, exec, s[90:91]
	s_cbranch_execz .LBB4_474
.LBB4_469:                              ;   Parent Loop BB4_47 Depth=1
                                        ;     Parent Loop BB4_269 Depth=2
                                        ;       Parent Loop BB4_416 Depth=3
                                        ; =>      This Inner Loop Header: Depth=4
	s_add_i32 s8, s8, 1
	s_cmpk_lg_i32 s8, 0x2710
	s_cselect_b64 s[30:31], -1, 0
	s_and_b64 vcc, exec, s[30:31]
	s_cbranch_vccz .LBB4_471
; %bb.470:                              ;   in Loop: Header=BB4_469 Depth=4
	s_mov_b64 vcc, -1
	s_or_b64 s[94:95], s[94:95], exec
	s_and_saveexec_b64 s[34:35], s[30:31]
	s_cbranch_execz .LBB4_468
	s_branch .LBB4_472
.LBB4_471:                              ;   in Loop: Header=BB4_469 Depth=4
	s_trap 2
	ds_read_b64 v[0:1], v0
	s_andn2_b64 s[30:31], s[30:31], exec
	s_mov_b32 s8, 0
	s_waitcnt vmcnt(0) lgkmcnt(0)
	flat_load_dword v0, v[0:1] glc
	s_waitcnt vmcnt(0) lgkmcnt(0)
	buffer_wbinvl1_vol
	v_cmp_eq_u32_e32 vcc, 0, v0
	s_and_b64 vcc, vcc, exec
	s_or_b64 s[30:31], s[30:31], vcc
	s_mov_b64 vcc, -1
	s_or_b64 s[94:95], s[94:95], exec
	s_and_saveexec_b64 s[34:35], s[30:31]
	s_cbranch_execz .LBB4_468
.LBB4_472:                              ;   in Loop: Header=BB4_469 Depth=4
	s_sleep 1
	s_trap 2
	ds_read_b64 v[0:1], v0
	s_waitcnt lgkmcnt(0)
	s_andn2_b64 s[94:95], s[94:95], exec
	v_cmp_ge_u64_e32 vcc, v[0:1], v[28:29]
	s_orn2_b64 vcc, vcc, exec
	s_branch .LBB4_468
.LBB4_473:                              ;   in Loop: Header=BB4_416 Depth=3
	s_andn2_saveexec_b64 s[28:29], s[28:29]
	s_cbranch_execnz .LBB4_481
	s_branch .LBB4_484
.LBB4_474:                              ;   in Loop: Header=BB4_416 Depth=3
	s_or_b64 exec, exec, s[90:91]
	s_and_saveexec_b64 s[90:91], s[92:93]
	s_xor_b64 s[90:91], exec, s[90:91]
	s_cbranch_execz .LBB4_476
; %bb.475:                              ;   in Loop: Header=BB4_416 Depth=3
	ds_write_b32 v0, v45
	s_trap 2
.LBB4_476:                              ;   in Loop: Header=BB4_416 Depth=3
	s_or_b64 exec, exec, s[88:89]
	;;#ASMSTART
	s_wakeup
	;;#ASMEND
.LBB4_477:                              ;   in Loop: Header=BB4_416 Depth=3
	s_or_b64 exec, exec, s[78:79]
.LBB4_478:                              ;   in Loop: Header=BB4_416 Depth=3
	s_andn2_saveexec_b64 s[76:77], s[76:77]
	s_cbranch_execz .LBB4_480
; %bb.479:                              ;   in Loop: Header=BB4_416 Depth=3
	;;#ASMSTART
	s_waitcnt lgkmcnt(0) vmcnt(0)
	;;#ASMEND
	s_waitcnt vmcnt(0) lgkmcnt(0)
	s_barrier
.LBB4_480:                              ;   in Loop: Header=BB4_416 Depth=3
	s_or_b64 exec, exec, s[76:77]
	v_and_b32_e32 v0, 16, v59
	s_andn2_saveexec_b64 s[28:29], s[28:29]
	s_cbranch_execz .LBB4_484
.LBB4_481:                              ;   in Loop: Header=BB4_416 Depth=3
	s_trap 2
	ds_read_b32 v0, v0
	v_cmp_lt_i32_e32 vcc, 0, v8
	v_and_b32_e32 v1, 16, v59
	s_waitcnt lgkmcnt(0)
	v_readfirstlane_b32 s8, v0
	s_cmp_eq_u32 s8, 0
	s_cselect_b64 s[76:77], -1, 0
	s_and_b64 s[76:77], vcc, s[76:77]
	v_cmp_ne_u32_e32 vcc, 0, v1
	v_and_b32_e32 v0, 16, v59
	s_and_b64 s[78:79], vcc, s[76:77]
	s_and_saveexec_b64 s[76:77], s[78:79]
	s_cbranch_execz .LBB4_483
; %bb.482:                              ;   in Loop: Header=BB4_416 Depth=3
	v_mov_b32_e32 v0, 1
	s_waitcnt vmcnt(0)
	buffer_wbinvl1_vol
.LBB4_483:                              ;   in Loop: Header=BB4_416 Depth=3
	s_or_b64 exec, exec, s[76:77]
.LBB4_484:                              ;   in Loop: Header=BB4_416 Depth=3
	s_or_b64 exec, exec, s[28:29]
	v_cmp_ne_u32_e32 vcc, 0, v0
	s_xor_b64 s[28:29], s[12:13], -1
	s_and_b64 s[76:77], vcc, s[28:29]
	s_and_saveexec_b64 s[28:29], s[76:77]
	s_cbranch_execz .LBB4_486
; %bb.485:                              ;   in Loop: Header=BB4_416 Depth=3
	s_waitcnt vmcnt(0)
	flat_store_dword v[46:47], v45
.LBB4_486:                              ;   in Loop: Header=BB4_416 Depth=3
	s_or_b64 exec, exec, s[28:29]
	v_and_b32_e32 v0, 48, v59
	v_cmp_ne_u32_e32 vcc, 0, v0
	s_and_saveexec_b64 s[28:29], vcc
	s_cbranch_execz .LBB4_415
; %bb.487:                              ;   in Loop: Header=BB4_416 Depth=3
	v_add_co_u32_e32 v20, vcc, 2, v20
	v_addc_co_u32_e32 v21, vcc, 0, v21, vcc
	flat_store_dwordx2 v[22:23], v[20:21]
	s_branch .LBB4_415
.LBB4_488:                              ;   in Loop: Header=BB4_47 Depth=1
	buffer_load_dword v2, off, s[0:3], s33 offset:172 ; 4-byte Folded Reload
	buffer_load_dword v3, off, s[0:3], s33 offset:176 ; 4-byte Folded Reload
	v_mov_b32_e32 v54, 0
	s_waitcnt vmcnt(0)
	v_mul_lo_u32 v1, v2, s53
	v_mul_lo_u32 v0, v3, s52
	v_mad_u64_u32 v[8:9], s[8:9], v2, s52, 0
	v_add3_u32 v9, v9, v1, v0
	buffer_load_dword v0, off, s[0:3], s33 offset:164 ; 4-byte Folded Reload
	buffer_load_dword v1, off, s[0:3], s33 offset:168 ; 4-byte Folded Reload
	s_waitcnt vmcnt(0)
	v_sub_co_u32_e32 v0, vcc, v0, v8
	v_subb_co_u32_e32 v1, vcc, v1, v9, vcc
	v_cmp_lt_i64_e32 vcc, v[2:3], v[0:1]
	v_cndmask_b32_e32 v1, v0, v2, vcc
	v_max_i32_e32 v48, 0, v1
	v_add_u32_e32 v3, 31, v48
	v_lshrrev_b32_e32 v3, 1, v3
	v_and_b32_e32 v3, 0x3ffffff0, v3
	v_cmp_lt_i32_e32 vcc, 0, v1
	v_mov_b32_e32 v0, 0
	v_max_i32_e32 v49, s47, v3
	s_and_b64 s[8:9], s[72:73], vcc
	s_and_saveexec_b64 s[76:77], s[8:9]
	s_cbranch_execz .LBB4_668
; %bb.489:                              ;   in Loop: Header=BB4_47 Depth=1
	buffer_load_dword v0, off, s[0:3], s33 offset:84 ; 4-byte Folded Reload
	s_mov_b32 s9, 1
	s_mov_b64 s[88:89], -1
	v_mov_b32_e32 v54, 0
	s_mov_b64 s[78:79], 0
	s_waitcnt vmcnt(0)
	v_add_co_u32_e32 v52, vcc, v8, v0
	buffer_load_dword v0, off, s[0:3], s33 offset:88 ; 4-byte Folded Reload
	s_waitcnt vmcnt(0)
	v_addc_co_u32_e32 v18, vcc, v9, v0, vcc
	buffer_store_dword v48, off, s[0:3], s33 offset:224 ; 4-byte Folded Spill
	buffer_store_dword v52, off, s[0:3], s33 offset:212 ; 4-byte Folded Spill
	;; [unrolled: 1-line block ×3, first 2 shown]
	s_branch .LBB4_491
.LBB4_490:                              ;   in Loop: Header=BB4_491 Depth=2
	s_or_b64 exec, exec, s[28:29]
	v_add_u32_e32 v54, v49, v54
	s_waitcnt vmcnt(0)
	v_cmp_ge_i32_e32 vcc, v54, v48
	s_xor_b64 s[28:29], s[88:89], -1
	s_or_b64 s[28:29], s[28:29], vcc
	s_and_b64 s[28:29], exec, s[28:29]
	s_or_b64 s[78:79], s[28:29], s[78:79]
	s_mov_b64 s[88:89], 0
	v_mov_b32_e32 v0, s9
	s_mov_b32 s9, 2
	s_andn2_b64 exec, exec, s[78:79]
	s_cbranch_execz .LBB4_743
.LBB4_491:                              ;   Parent Loop BB4_47 Depth=1
                                        ; =>  This Loop Header: Depth=2
                                        ;       Child Loop BB4_499 Depth 3
                                        ;       Child Loop BB4_527 Depth 3
	;; [unrolled: 1-line block ×5, first 2 shown]
                                        ;         Child Loop BB4_574 Depth 4
                                        ;       Child Loop BB4_588 Depth 3
                                        ;       Child Loop BB4_593 Depth 3
                                        ;         Child Loop BB4_594 Depth 4
                                        ;       Child Loop BB4_606 Depth 3
                                        ;       Child Loop BB4_611 Depth 3
	;; [unrolled: 1-line block ×6, first 2 shown]
	s_and_saveexec_b64 s[28:29], s[4:5]
	s_cbranch_execz .LBB4_493
; %bb.492:                              ;   in Loop: Header=BB4_491 Depth=2
	s_trap 2
	ds_read2_b64 v[3:6], v0 offset1:1
	s_waitcnt lgkmcnt(0)
	v_add_co_u32_e32 v0, vcc, v3, v52
	v_addc_co_u32_e32 v1, vcc, v4, v18, vcc
	v_ashrrev_i32_e32 v3, 31, v54
	v_add_co_u32_e32 v0, vcc, v0, v54
	v_addc_co_u32_e32 v1, vcc, v1, v3, vcc
	ds_write_b64 v0, v[0:1]
	v_add_co_u32_e32 v0, vcc, v5, v52
	v_addc_co_u32_e32 v1, vcc, v6, v18, vcc
	v_add_co_u32_e32 v0, vcc, v0, v54
	v_addc_co_u32_e32 v1, vcc, v1, v3, vcc
	ds_write_b64 v0, v[0:1]
	ds_read_b64 v[0:1], v0
	s_waitcnt lgkmcnt(0)
	v_add_co_u32_e32 v4, vcc, v0, v52
	v_addc_co_u32_e32 v5, vcc, v1, v18, vcc
	v_add_co_u32_e32 v4, vcc, v4, v54
	v_addc_co_u32_e32 v3, vcc, v5, v3, vcc
	v_cmp_ne_u64_e32 vcc, 0, v[0:1]
	v_cndmask_b32_e32 v1, 0, v3, vcc
	v_cndmask_b32_e32 v0, 0, v4, vcc
	ds_write_b64 v0, v[0:1]
.LBB4_493:                              ;   in Loop: Header=BB4_491 Depth=2
	s_or_b64 exec, exec, s[28:29]
	v_sub_u32_e32 v0, v48, v54
	v_min_i32_e32 v49, v49, v0
	v_and_b32_e32 v0, 12, v59
	v_cmp_ne_u32_e32 vcc, 0, v0
	s_and_saveexec_b64 s[40:41], vcc
	s_cbranch_execz .LBB4_519
; %bb.494:                              ;   in Loop: Header=BB4_491 Depth=2
	v_and_b32_e32 v0, 8, v59
	s_waitcnt lgkmcnt(0)
	v_add_co_u32_e32 v3, vcc, v32, v0
	v_addc_co_u32_e32 v4, vcc, 0, v33, vcc
	v_add_co_u32_e32 v8, vcc, 2, v20
	v_addc_co_u32_e32 v9, vcc, 0, v21, vcc
	v_cmp_lt_u64_e32 vcc, v[3:4], v[8:9]
	s_and_saveexec_b64 s[42:43], vcc
	s_cbranch_execz .LBB4_506
; %bb.495:                              ;   in Loop: Header=BB4_491 Depth=2
	v_and_b32_e32 v1, 64, v59
	s_mov_b32 s75, 0
	v_cmp_eq_u32_e32 vcc, 0, v1
	s_mov_b64 s[90:91], 0
                                        ; implicit-def: $sgpr92_sgpr93
                                        ; implicit-def: $sgpr94_sgpr95
                                        ; implicit-def: $sgpr30_sgpr31
	s_branch .LBB4_499
.LBB4_496:                              ;   in Loop: Header=BB4_499 Depth=3
	s_waitcnt vmcnt(0) lgkmcnt(0)
	v_add_co_u32_e64 v3, s[28:29], v32, v0
	v_addc_co_u32_e64 v4, s[28:29], 0, v33, s[28:29]
	v_cmp_ge_u64_e64 s[28:29], v[3:4], v[8:9]
	s_or_b64 s[38:39], s[38:39], exec
	s_orn2_b64 s[36:37], s[28:29], exec
.LBB4_497:                              ;   in Loop: Header=BB4_499 Depth=3
	s_or_b64 exec, exec, s[50:51]
	s_andn2_b64 s[28:29], s[30:31], exec
	s_and_b64 s[30:31], s[38:39], exec
	s_or_b64 s[30:31], s[28:29], s[30:31]
	s_andn2_b64 s[28:29], s[94:95], exec
	s_and_b64 s[94:95], s[36:37], exec
	s_or_b64 s[94:95], s[28:29], s[94:95]
.LBB4_498:                              ;   in Loop: Header=BB4_499 Depth=3
	s_or_b64 exec, exec, s[34:35]
	s_and_b64 s[28:29], exec, s[94:95]
	s_or_b64 s[90:91], s[28:29], s[90:91]
	s_andn2_b64 s[28:29], s[92:93], exec
	s_and_b64 s[92:93], s[30:31], exec
	s_or_b64 s[92:93], s[28:29], s[92:93]
	s_andn2_b64 exec, exec, s[90:91]
	s_cbranch_execz .LBB4_503
.LBB4_499:                              ;   Parent Loop BB4_47 Depth=1
                                        ;     Parent Loop BB4_491 Depth=2
                                        ; =>    This Inner Loop Header: Depth=3
	s_sleep 1
	s_waitcnt vmcnt(0) lgkmcnt(0)
	flat_load_dwordx2 v[32:33], v[22:23] glc
	s_or_b64 s[30:31], s[30:31], exec
	s_or_b64 s[94:95], s[94:95], exec
                                        ; implicit-def: $vgpr1
	s_and_saveexec_b64 s[34:35], vcc
	s_cbranch_execz .LBB4_498
; %bb.500:                              ;   in Loop: Header=BB4_499 Depth=3
	s_cmpk_lt_i32 s75, 0x270f
	s_cselect_b64 s[48:49], -1, 0
	s_cmpk_gt_i32 s75, 0x270e
	s_mov_b64 s[36:37], -1
	s_cbranch_scc0 .LBB4_502
; %bb.501:                              ;   in Loop: Header=BB4_499 Depth=3
	s_trap 2
	ds_read_b64 v[3:4], v0
	s_andn2_b64 s[48:49], s[48:49], exec
	s_mov_b32 s75, 0
	s_mov_b64 s[38:39], 0
	s_waitcnt vmcnt(0) lgkmcnt(0)
	flat_load_dword v1, v[3:4] glc
	s_waitcnt vmcnt(0) lgkmcnt(0)
	buffer_wbinvl1_vol
	v_cmp_eq_u32_e64 s[28:29], 0, v1
	s_and_b64 s[28:29], s[28:29], exec
	s_or_b64 s[48:49], s[48:49], s[28:29]
	s_and_saveexec_b64 s[50:51], s[48:49]
	s_cbranch_execz .LBB4_497
	s_branch .LBB4_496
.LBB4_502:                              ;   in Loop: Header=BB4_499 Depth=3
	s_add_i32 s75, s75, 1
	s_mov_b64 s[38:39], -1
                                        ; implicit-def: $vgpr1
	s_and_saveexec_b64 s[50:51], s[48:49]
	s_cbranch_execz .LBB4_497
	s_branch .LBB4_496
.LBB4_503:                              ;   in Loop: Header=BB4_491 Depth=2
	s_or_b64 exec, exec, s[90:91]
	s_xor_b64 s[28:29], s[92:93], -1
	s_and_saveexec_b64 s[90:91], s[28:29]
	s_xor_b64 s[28:29], exec, s[90:91]
	s_cbranch_execz .LBB4_505
; %bb.504:                              ;   in Loop: Header=BB4_491 Depth=2
	v_or_b32_e32 v59, 64, v59
	s_waitcnt lgkmcnt(0)
	ds_write_b32 v0, v1
	s_trap 2
.LBB4_505:                              ;   in Loop: Header=BB4_491 Depth=2
	s_or_b64 exec, exec, s[28:29]
.LBB4_506:                              ;   in Loop: Header=BB4_491 Depth=2
	s_or_b64 exec, exec, s[42:43]
	v_and_b32_e32 v1, 0x108, v59
	v_cmp_ne_u32_e32 vcc, s55, v1
	;;#ASMSTART
	s_wakeup
	;;#ASMEND
                                        ; implicit-def: $vgpr10_vgpr11
	s_and_saveexec_b64 s[28:29], vcc
	s_xor_b64 s[28:29], exec, s[28:29]
; %bb.507:                              ;   in Loop: Header=BB4_491 Depth=2
	v_and_b32_e32 v10, 7, v20
	v_mov_b32_e32 v11, v34
                                        ; implicit-def: $vgpr20_vgpr21
; %bb.508:                              ;   in Loop: Header=BB4_491 Depth=2
	s_andn2_saveexec_b64 s[28:29], s[28:29]
	s_cbranch_execz .LBB4_510
; %bb.509:                              ;   in Loop: Header=BB4_491 Depth=2
	v_and_b32_e32 v10, 7, v20
	v_mad_u64_u32 v[3:4], s[42:43], v10, 24, v[16:17]
	v_mov_b32_e32 v11, v34
	v_ashrrev_i32_e32 v50, 31, v49
	flat_store_dwordx2 v[3:4], v[49:50] offset:8
.LBB4_510:                              ;   in Loop: Header=BB4_491 Depth=2
	s_or_b64 exec, exec, s[28:29]
	v_and_b32_e32 v1, 0x100, v59
	v_cmp_ne_u32_e32 vcc, 0, v1
	s_mov_b64 s[28:29], -1
                                        ; implicit-def: $vgpr12_vgpr13
	s_and_saveexec_b64 s[42:43], vcc
	s_cbranch_execz .LBB4_514
; %bb.511:                              ;   in Loop: Header=BB4_491 Depth=2
	v_mad_u64_u32 v[14:15], s[28:29], v10, 24, v[16:17]
                                        ; implicit-def: $vgpr12_vgpr13
	v_mov_b32_e32 v1, v15
	v_mad_u64_u32 v[3:4], s[28:29], v11, 24, v[1:2]
	v_mov_b32_e32 v15, v3
	flat_load_dword v1, v[14:15]
	s_waitcnt vmcnt(0) lgkmcnt(0)
	v_cmp_ne_u32_e32 vcc, 1, v1
	v_cmp_eq_u32_e64 s[28:29], 1, v1
	s_and_saveexec_b64 s[90:91], s[28:29]
	s_cbranch_execz .LBB4_513
; %bb.512:                              ;   in Loop: Header=BB4_491 Depth=2
	flat_load_dword v12, v[14:15] offset:4 glc
	s_waitcnt vmcnt(0) lgkmcnt(0)
	v_ashrrev_i32_e32 v13, 31, v12
.LBB4_513:                              ;   in Loop: Header=BB4_491 Depth=2
	s_or_b64 exec, exec, s[90:91]
	s_orn2_b64 s[28:29], vcc, exec
.LBB4_514:                              ;   in Loop: Header=BB4_491 Depth=2
	s_or_b64 exec, exec, s[42:43]
	s_and_saveexec_b64 s[42:43], s[28:29]
	s_cbranch_execz .LBB4_516
; %bb.515:                              ;   in Loop: Header=BB4_491 Depth=2
	v_mul_lo_u32 v1, v11, v61
	v_mul_lo_u32 v3, v10, v58
	v_mad_u64_u32 v[12:13], s[28:29], v10, v61, 0
	v_add3_u32 v13, v13, v3, v1
.LBB4_516:                              ;   in Loop: Header=BB4_491 Depth=2
	s_or_b64 exec, exec, s[42:43]
	v_cmp_eq_u32_e32 vcc, 0, v0
	v_mov_b32_e32 v0, 0xd0
	v_mov_b32_e32 v1, 0x90
	v_cndmask_b32_e32 v3, v0, v1, vcc
	v_add_co_u32_e32 v0, vcc, v56, v12
	v_addc_co_u32_e32 v1, vcc, v57, v13, vcc
	v_add_u32_e32 v3, v0, v3
	ds_write_b64 v3, v[0:1] offset:584
	v_and_b32_e32 v0, 0x2000, v59
	v_cmp_ne_u32_e32 vcc, 0, v0
	s_and_saveexec_b64 s[28:29], vcc
	s_cbranch_execz .LBB4_518
; %bb.517:                              ;   in Loop: Header=BB4_491 Depth=2
	ds_read_b64 v[0:1], v0 offset:872
	s_waitcnt lgkmcnt(0)
	v_add_co_u32_e32 v0, vcc, 1, v0
	v_addc_co_u32_e32 v1, vcc, 0, v1, vcc
	ds_write_b64 v0, v[0:1] offset:872
.LBB4_518:                              ;   in Loop: Header=BB4_491 Depth=2
	s_or_b64 exec, exec, s[28:29]
	v_mov_b32_e32 v21, v9
	v_mov_b32_e32 v20, v8
.LBB4_519:                              ;   in Loop: Header=BB4_491 Depth=2
	s_or_b64 exec, exec, s[40:41]
	s_and_saveexec_b64 s[28:29], s[10:11]
	s_cbranch_execz .LBB4_538
; %bb.520:                              ;   in Loop: Header=BB4_491 Depth=2
	s_and_saveexec_b64 s[40:41], s[56:57]
	s_xor_b64 s[40:41], exec, s[40:41]
	s_cbranch_execz .LBB4_535
; %bb.521:                              ;   in Loop: Header=BB4_491 Depth=2
	s_and_saveexec_b64 s[42:43], s[16:17]
	s_cbranch_execz .LBB4_534
; %bb.522:                              ;   in Loop: Header=BB4_491 Depth=2
	s_mov_b64 s[92:93], exec
	v_mbcnt_lo_u32_b32 v0, s92, 0
	v_mbcnt_hi_u32_b32 v0, s93, v0
	v_cmp_eq_u32_e32 vcc, 0, v0
	s_waitcnt vmcnt(0) lgkmcnt(0)
	buffer_wbinvl1_vol
	s_and_saveexec_b64 s[90:91], vcc
	s_cbranch_execz .LBB4_524
; %bb.523:                              ;   in Loop: Header=BB4_491 Depth=2
	s_bcnt1_i32_b64 s8, s[92:93]
	v_mov_b32_e32 v0, s8
	v_mov_b32_e32 v1, v34
	ds_add_u64 v0, v[0:1]
	s_trap 2
.LBB4_524:                              ;   in Loop: Header=BB4_491 Depth=2
	s_or_b64 exec, exec, s[90:91]
	s_trap 2
	ds_read_b64 v[0:1], v0
	s_waitcnt lgkmcnt(0)
	v_add_co_u32_e32 v28, vcc, v28, v39
	v_addc_co_u32_e32 v29, vcc, 0, v29, vcc
	v_cmp_lt_u64_e32 vcc, v[0:1], v[28:29]
	s_and_saveexec_b64 s[90:91], vcc
	s_cbranch_execz .LBB4_533
; %bb.525:                              ;   in Loop: Header=BB4_491 Depth=2
	s_mov_b32 s8, 0
	s_mov_b64 s[92:93], 0
                                        ; implicit-def: $sgpr94_sgpr95
                                        ; implicit-def: $sgpr30_sgpr31
	s_branch .LBB4_527
.LBB4_526:                              ;   in Loop: Header=BB4_527 Depth=3
	s_or_b64 exec, exec, s[36:37]
	s_and_b64 vcc, exec, vcc
	s_or_b64 s[92:93], vcc, s[92:93]
	s_andn2_b64 s[94:95], s[94:95], exec
	s_and_b64 vcc, s[30:31], exec
	s_or_b64 s[94:95], s[94:95], vcc
	s_andn2_b64 exec, exec, s[92:93]
	s_cbranch_execz .LBB4_531
.LBB4_527:                              ;   Parent Loop BB4_47 Depth=1
                                        ;     Parent Loop BB4_491 Depth=2
                                        ; =>    This Inner Loop Header: Depth=3
	s_add_i32 s8, s8, 1
	s_cmpk_lg_i32 s8, 0x2710
	s_cselect_b64 s[34:35], -1, 0
	s_and_b64 vcc, exec, s[34:35]
	s_cbranch_vccz .LBB4_529
; %bb.528:                              ;   in Loop: Header=BB4_527 Depth=3
	s_mov_b64 vcc, -1
	s_or_b64 s[30:31], s[30:31], exec
	s_and_saveexec_b64 s[36:37], s[34:35]
	s_cbranch_execz .LBB4_526
	s_branch .LBB4_530
.LBB4_529:                              ;   in Loop: Header=BB4_527 Depth=3
	s_trap 2
	ds_read_b64 v[0:1], v0
	s_andn2_b64 s[34:35], s[34:35], exec
	s_mov_b32 s8, 0
	s_waitcnt lgkmcnt(0)
	flat_load_dword v0, v[0:1] glc
	s_waitcnt vmcnt(0) lgkmcnt(0)
	buffer_wbinvl1_vol
	v_cmp_eq_u32_e32 vcc, 0, v0
	s_and_b64 vcc, vcc, exec
	s_or_b64 s[34:35], s[34:35], vcc
	s_mov_b64 vcc, -1
	s_or_b64 s[30:31], s[30:31], exec
	s_and_saveexec_b64 s[36:37], s[34:35]
	s_cbranch_execz .LBB4_526
.LBB4_530:                              ;   in Loop: Header=BB4_527 Depth=3
	s_sleep 1
	s_trap 2
	ds_read_b64 v[0:1], v0
	s_waitcnt lgkmcnt(0)
	s_andn2_b64 s[30:31], s[30:31], exec
	v_cmp_ge_u64_e32 vcc, v[0:1], v[28:29]
	s_orn2_b64 vcc, vcc, exec
	s_branch .LBB4_526
.LBB4_531:                              ;   in Loop: Header=BB4_491 Depth=2
	s_or_b64 exec, exec, s[92:93]
	s_and_saveexec_b64 s[92:93], s[94:95]
	s_xor_b64 s[92:93], exec, s[92:93]
	s_cbranch_execz .LBB4_533
; %bb.532:                              ;   in Loop: Header=BB4_491 Depth=2
	ds_write_b32 v0, v45
	s_trap 2
.LBB4_533:                              ;   in Loop: Header=BB4_491 Depth=2
	s_or_b64 exec, exec, s[90:91]
	;;#ASMSTART
	s_wakeup
	;;#ASMEND
.LBB4_534:                              ;   in Loop: Header=BB4_491 Depth=2
	s_or_b64 exec, exec, s[42:43]
.LBB4_535:                              ;   in Loop: Header=BB4_491 Depth=2
	s_andn2_saveexec_b64 s[40:41], s[40:41]
	s_cbranch_execz .LBB4_537
; %bb.536:                              ;   in Loop: Header=BB4_491 Depth=2
	s_waitcnt vmcnt(0) lgkmcnt(0)
	buffer_wbinvl1_vol
	s_barrier
.LBB4_537:                              ;   in Loop: Header=BB4_491 Depth=2
	s_or_b64 exec, exec, s[40:41]
.LBB4_538:                              ;   in Loop: Header=BB4_491 Depth=2
	s_or_b64 exec, exec, s[28:29]
	s_trap 2
	ds_read_b32 v0, v0
	v_and_b32_e32 v1, 0x4000, v59
	v_cmp_ne_u32_e32 vcc, 0, v1
	s_xor_b64 s[28:29], s[6:7], -1
	s_and_b64 s[40:41], s[28:29], vcc
	s_and_saveexec_b64 s[28:29], s[40:41]
	s_cbranch_execz .LBB4_557
; %bb.539:                              ;   in Loop: Header=BB4_491 Depth=2
	s_and_saveexec_b64 s[40:41], s[56:57]
	s_xor_b64 s[40:41], exec, s[40:41]
	s_cbranch_execz .LBB4_554
; %bb.540:                              ;   in Loop: Header=BB4_491 Depth=2
	s_and_saveexec_b64 s[42:43], s[16:17]
	s_cbranch_execz .LBB4_553
; %bb.541:                              ;   in Loop: Header=BB4_491 Depth=2
	s_mov_b64 s[92:93], exec
	v_mbcnt_lo_u32_b32 v1, s92, 0
	v_mbcnt_hi_u32_b32 v1, s93, v1
	v_cmp_eq_u32_e32 vcc, 0, v1
	s_waitcnt vmcnt(0) lgkmcnt(0)
	buffer_wbinvl1_vol
	s_and_saveexec_b64 s[90:91], vcc
	s_cbranch_execz .LBB4_543
; %bb.542:                              ;   in Loop: Header=BB4_491 Depth=2
	s_bcnt1_i32_b64 s8, s[92:93]
	v_mov_b32_e32 v3, s8
	v_mov_b32_e32 v4, v34
	ds_add_u64 v0, v[3:4]
	s_trap 2
.LBB4_543:                              ;   in Loop: Header=BB4_491 Depth=2
	s_or_b64 exec, exec, s[90:91]
	s_trap 2
	ds_read_b64 v[3:4], v0
	s_waitcnt lgkmcnt(0)
	v_add_co_u32_e32 v28, vcc, v28, v39
	v_addc_co_u32_e32 v29, vcc, 0, v29, vcc
	v_cmp_lt_u64_e32 vcc, v[3:4], v[28:29]
	s_and_saveexec_b64 s[90:91], vcc
	s_cbranch_execz .LBB4_552
; %bb.544:                              ;   in Loop: Header=BB4_491 Depth=2
	s_mov_b32 s8, 0
	s_mov_b64 s[92:93], 0
                                        ; implicit-def: $sgpr94_sgpr95
                                        ; implicit-def: $sgpr30_sgpr31
	s_branch .LBB4_546
.LBB4_545:                              ;   in Loop: Header=BB4_546 Depth=3
	s_or_b64 exec, exec, s[36:37]
	s_and_b64 vcc, exec, vcc
	s_or_b64 s[92:93], vcc, s[92:93]
	s_andn2_b64 s[94:95], s[94:95], exec
	s_and_b64 vcc, s[30:31], exec
	s_or_b64 s[94:95], s[94:95], vcc
	s_andn2_b64 exec, exec, s[92:93]
	s_cbranch_execz .LBB4_550
.LBB4_546:                              ;   Parent Loop BB4_47 Depth=1
                                        ;     Parent Loop BB4_491 Depth=2
                                        ; =>    This Inner Loop Header: Depth=3
	s_add_i32 s8, s8, 1
	s_cmpk_lg_i32 s8, 0x2710
	s_cselect_b64 s[34:35], -1, 0
	s_and_b64 vcc, exec, s[34:35]
	s_cbranch_vccz .LBB4_548
; %bb.547:                              ;   in Loop: Header=BB4_546 Depth=3
	s_mov_b64 vcc, -1
	s_or_b64 s[30:31], s[30:31], exec
	s_and_saveexec_b64 s[36:37], s[34:35]
	s_cbranch_execz .LBB4_545
	s_branch .LBB4_549
.LBB4_548:                              ;   in Loop: Header=BB4_546 Depth=3
	s_trap 2
	ds_read_b64 v[3:4], v0
	s_andn2_b64 s[34:35], s[34:35], exec
	s_mov_b32 s8, 0
	s_waitcnt lgkmcnt(0)
	flat_load_dword v1, v[3:4] glc
	s_waitcnt vmcnt(0) lgkmcnt(0)
	buffer_wbinvl1_vol
	v_cmp_eq_u32_e32 vcc, 0, v1
	s_and_b64 vcc, vcc, exec
	s_or_b64 s[34:35], s[34:35], vcc
	s_mov_b64 vcc, -1
	s_or_b64 s[30:31], s[30:31], exec
	s_and_saveexec_b64 s[36:37], s[34:35]
	s_cbranch_execz .LBB4_545
.LBB4_549:                              ;   in Loop: Header=BB4_546 Depth=3
	s_sleep 1
	s_trap 2
	ds_read_b64 v[3:4], v0
	s_waitcnt lgkmcnt(0)
	s_andn2_b64 s[30:31], s[30:31], exec
	v_cmp_ge_u64_e32 vcc, v[3:4], v[28:29]
	s_orn2_b64 vcc, vcc, exec
	s_branch .LBB4_545
.LBB4_550:                              ;   in Loop: Header=BB4_491 Depth=2
	s_or_b64 exec, exec, s[92:93]
	s_and_saveexec_b64 s[92:93], s[94:95]
	s_xor_b64 s[92:93], exec, s[92:93]
	s_cbranch_execz .LBB4_552
; %bb.551:                              ;   in Loop: Header=BB4_491 Depth=2
	ds_write_b32 v0, v45
	s_trap 2
.LBB4_552:                              ;   in Loop: Header=BB4_491 Depth=2
	s_or_b64 exec, exec, s[90:91]
	;;#ASMSTART
	s_wakeup
	;;#ASMEND
.LBB4_553:                              ;   in Loop: Header=BB4_491 Depth=2
	s_or_b64 exec, exec, s[42:43]
.LBB4_554:                              ;   in Loop: Header=BB4_491 Depth=2
	s_andn2_saveexec_b64 s[40:41], s[40:41]
	s_cbranch_execz .LBB4_556
; %bb.555:                              ;   in Loop: Header=BB4_491 Depth=2
	s_waitcnt vmcnt(0) lgkmcnt(0)
	buffer_wbinvl1_vol
	s_barrier
.LBB4_556:                              ;   in Loop: Header=BB4_491 Depth=2
	s_or_b64 exec, exec, s[40:41]
.LBB4_557:                              ;   in Loop: Header=BB4_491 Depth=2
	s_or_b64 exec, exec, s[28:29]
	s_trap 2
	s_waitcnt lgkmcnt(0)
	ds_read_b64 v[26:27], v0
	s_waitcnt lgkmcnt(0)
	v_cmp_eq_u64_e32 vcc, 0, v[26:27]
	s_cbranch_vccnz .LBB4_579
; %bb.558:                              ;   in Loop: Header=BB4_491 Depth=2
	s_trap 2
	ds_read_b64 v[24:25], v0
	s_waitcnt lgkmcnt(0)
	v_cmp_eq_u64_e32 vcc, 0, v[24:25]
	s_cbranch_vccnz .LBB4_579
; %bb.559:                              ;   in Loop: Header=BB4_491 Depth=2
	s_trap 2
	ds_read_b64 v[42:43], v0
	v_cmp_eq_u32_e64 s[28:29], 0, v0
	v_cndmask_b32_e64 v50, 0, v49, s[28:29]
	s_mov_b64 s[28:29], -1
	s_waitcnt lgkmcnt(0)
	v_cmp_ne_u64_e32 vcc, 0, v[42:43]
	s_cbranch_vccz .LBB4_597
; %bb.560:                              ;   in Loop: Header=BB4_491 Depth=2
	s_and_saveexec_b64 s[40:41], s[22:23]
	s_cbranch_execz .LBB4_562
; %bb.561:                              ;   in Loop: Header=BB4_491 Depth=2
	ds_read_b32 v0, v0 offset:720
	s_waitcnt lgkmcnt(0)
	v_and_b32_e32 v0, 15, v0
	v_cmp_eq_u32_e32 vcc, 0, v0
	s_orn2_b64 s[28:29], vcc, exec
.LBB4_562:                              ;   in Loop: Header=BB4_491 Depth=2
	s_or_b64 exec, exec, s[40:41]
	s_and_saveexec_b64 s[40:41], s[22:23]
	s_cbranch_execz .LBB4_564
; %bb.563:                              ;   in Loop: Header=BB4_491 Depth=2
	ds_read_b32 v0, v0 offset:784
	s_waitcnt lgkmcnt(0)
	v_and_b32_e32 v0, 15, v0
	v_cmp_eq_u32_e32 vcc, 0, v0
	s_and_b64 s[42:43], s[28:29], vcc
	s_andn2_b64 s[28:29], s[28:29], exec
	s_and_b64 s[42:43], s[42:43], exec
	s_or_b64 s[28:29], s[28:29], s[42:43]
.LBB4_564:                              ;   in Loop: Header=BB4_491 Depth=2
	s_or_b64 exec, exec, s[40:41]
	s_xor_b64 s[28:29], s[28:29], -1
	v_cndmask_b32_e64 v0, 0, 1, s[28:29]
	s_mov_b64 s[40:41], -1
	v_cmp_ne_u32_e32 vcc, 0, v0
	s_cbranch_vccz .LBB4_584
; %bb.565:                              ;   in Loop: Header=BB4_491 Depth=2
	v_alignbit_b32 v0, v42, v42, 1
	v_readfirstlane_b32 s8, v0
	v_readfirstlane_b32 s48, v0
	s_and_b32 s75, s8, 0x7fffffff
	s_mov_b64 s[90:91], -1
	v_mov_b32_e32 v55, 0
	s_cbranch_execnz .LBB4_585
.LBB4_566:                              ;   in Loop: Header=BB4_491 Depth=2
	v_ashrrev_i32_e32 v0, 31, v50
	v_lshrrev_b32_e32 v0, 21, v0
	v_add_u32_e32 v0, v50, v0
	v_ashrrev_i32_e32 v1, 11, v0
	v_alignbit_b32 v0, v42, v42, 1
	v_readfirstlane_b32 s48, v0
	v_readfirstlane_b32 s8, v0
	buffer_load_dword v0, off, s[0:3], s33 offset:124 ; 4-byte Folded Reload
	s_and_b32 s75, s8, 0x7fffffff
	s_waitcnt vmcnt(0)
	v_sub_u32_e32 v53, v1, v0
	v_cmp_lt_i32_e32 vcc, 0, v53
	s_and_saveexec_b64 s[40:41], vcc
	s_cbranch_execz .LBB4_570
; %bb.567:                              ;   in Loop: Header=BB4_491 Depth=2
	buffer_load_dword v2, off, s[0:3], s33 offset:180 ; 4-byte Folded Reload
	v_cvt_f32_u32_e32 v0, s75
	buffer_store_dword v1, off, s[0:3], s33 offset:236 ; 4-byte Folded Spill
	s_sub_i32 s8, 0, s75
	v_mov_b32_e32 v7, v50
	v_rcp_iflag_f32_e32 v0, v0
	s_mov_b64 s[92:93], 0
	v_mul_f32_e32 v0, 0x4f7ffffe, v0
	v_cvt_u32_f32_e32 v3, v0
	v_readfirstlane_b32 s28, v3
	s_mul_i32 s8, s8, s28
	s_mul_hi_u32 s8, s28, s8
	s_add_i32 s28, s28, s8
	s_mul_hi_u32 s8, s28, -1
	s_mul_i32 s28, s8, s75
	s_not_b32 s28, s28
	s_add_i32 s29, s8, 1
	s_sub_i32 s42, s28, s75
	s_cmp_ge_u32 s28, s75
	s_cselect_b32 s8, s29, s8
	s_cselect_b32 s28, s42, s28
	s_add_i32 s29, s8, 1
	s_cmp_ge_u32 s28, s75
	s_cselect_b32 s94, s29, s8
	s_cmp_lt_i32 s48, 0
	s_cselect_b64 s[42:43], -1, 0
	s_waitcnt vmcnt(1)
	v_add_co_u32_e32 v44, vcc, v26, v2
	buffer_store_dword v26, off, s[0:3], s33 offset:200 ; 4-byte Folded Spill
	s_nop 0
	buffer_store_dword v27, off, s[0:3], s33 offset:204 ; 4-byte Folded Spill
	s_trap 2
	ds_read_b64 v[0:1], v0
	v_addc_co_u32_e32 v45, vcc, 0, v27, vcc
	s_waitcnt lgkmcnt(0)
	v_add_co_u32_e32 v46, vcc, v0, v2
	v_addc_co_u32_e32 v47, vcc, 0, v1, vcc
	v_add_co_u32_e32 v55, vcc, v24, v2
	buffer_store_dword v24, off, s[0:3], s33 offset:152 ; 4-byte Folded Spill
	s_nop 0
	buffer_store_dword v25, off, s[0:3], s33 offset:156 ; 4-byte Folded Spill
	v_addc_co_u32_e32 v56, vcc, 0, v25, vcc
	v_add_co_u32_e32 v57, vcc, v42, v2
	buffer_store_dword v42, off, s[0:3], s33 offset:216 ; 4-byte Folded Spill
	s_nop 0
	buffer_store_dword v43, off, s[0:3], s33 offset:220 ; 4-byte Folded Spill
	v_addc_co_u32_e32 v58, vcc, 0, v43, vcc
.LBB4_568:                              ;   Parent Loop BB4_47 Depth=1
                                        ;     Parent Loop BB4_491 Depth=2
                                        ; =>    This Inner Loop Header: Depth=3
	global_load_dwordx4 v[3:6], v[44:45], off glc slc
	global_load_dwordx4 v[8:11], v[44:45], off offset:1024 glc slc
	global_load_dwordx4 v[24:27], v[46:47], off glc slc
	global_load_dwordx4 v[12:15], v[46:47], off offset:1024 glc slc
	s_waitcnt vmcnt(3)
	v_and_b32_e32 v0, 0xff00ff, v3
	s_waitcnt vmcnt(1)
	v_and_b32_e32 v1, 0xff00ff, v24
	v_add_u32_e32 v1, v1, v0
	v_and_b32_e32 v0, 0xff00ff00, v3
	v_and_b32_e32 v3, 0xff00ff00, v24
	v_add_u32_e32 v36, v3, v0
	v_and_b32_e32 v0, 0xff00ff, v4
	;; [unrolled: 3-line block ×8, first 2 shown]
	s_waitcnt vmcnt(0)
	v_and_b32_e32 v4, 0xff00ff, v12
	v_add_u32_e32 v61, v4, v3
	v_and_b32_e32 v3, 0xff00ff00, v8
	v_and_b32_e32 v4, 0xff00ff00, v12
	v_add_u32_e32 v12, v4, v3
	v_and_b32_e32 v3, 0xff00ff, v9
	;; [unrolled: 3-line block ×7, first 2 shown]
	v_and_b32_e32 v6, 0xff00ff00, v15
	v_cmp_lt_i16_sdwa s[28:29], sext(v1), v34 src0_sel:BYTE_0 src1_sel:DWORD
	v_add_u32_e32 v3, v6, v3
	s_and_b64 vcc, s[42:43], s[28:29]
	v_sub_u16_e32 v6, 0, v1
	v_cndmask_b32_e32 v6, v1, v6, vcc
	v_and_b32_e32 v6, 0xff, v6
	v_mul_hi_u32 v8, v6, s94
	v_perm_b32 v31, v36, v1, s64
	v_lshrrev_b32_e32 v1, 16, v1
	v_perm_b32 v35, v52, v0, s64
	v_mul_lo_u32 v9, s75, v8
	v_perm_b32 v30, v19, v50, s64
	v_perm_b32 v39, v38, v5, s64
	;; [unrolled: 1-line block ×3, first 2 shown]
	v_sub_u32_e32 v6, v6, v9
	v_cmp_le_u32_e64 s[28:29], s75, v6
	v_addc_co_u32_e64 v6, s[28:29], 0, v8, s[28:29]
	v_sub_u32_e32 v8, 0, v6
	v_and_b32_e32 v9, 0x8000, v31
	v_cndmask_b32_e32 v8, v6, v8, vcc
	v_lshrrev_b32_e32 v6, 8, v36
	v_cmp_ne_u32_e32 vcc, 0, v9
	s_and_b64 vcc, s[42:43], vcc
	v_sub_u16_e32 v9, 0, v6
	v_cndmask_b32_e32 v6, v6, v9, vcc
	v_and_b32_e32 v6, 0xff, v6
	v_mul_hi_u32 v9, v6, s94
	v_perm_b32 v43, v13, v51, s64
	v_perm_b32 v41, v14, v42, s64
	;; [unrolled: 1-line block ×3, first 2 shown]
	v_mul_lo_u32 v10, s75, v9
	v_sub_u32_e32 v6, v6, v10
	v_cmp_le_u32_e64 s[28:29], s75, v6
	v_addc_co_u32_e64 v6, s[28:29], 0, v9, s[28:29]
	v_sub_u32_e32 v9, 0, v6
	v_cmp_lt_i16_sdwa s[28:29], sext(v1), v34 src0_sel:BYTE_0 src1_sel:DWORD
	v_cndmask_b32_e32 v6, v6, v9, vcc
	s_and_b64 vcc, s[42:43], s[28:29]
	v_sub_u16_e32 v9, 0, v1
	v_cndmask_b32_e32 v1, v1, v9, vcc
	v_and_b32_e32 v1, 0xff, v1
	v_mul_hi_u32 v9, v1, s94
	v_lshlrev_b32_e32 v6, 8, v6
	v_perm_b32 v6, v6, v8, s87
	v_mul_lo_u32 v10, s75, v9
	v_sub_u32_e32 v1, v1, v10
	v_cmp_le_u32_e64 s[28:29], s75, v1
	v_addc_co_u32_e64 v1, s[28:29], 0, v9, s[28:29]
	v_sub_u32_e32 v9, 0, v1
	v_cndmask_b32_e32 v1, v1, v9, vcc
	v_lshrrev_b32_e32 v9, 24, v36
	v_and_b32_e32 v10, s48, v31
	v_cmp_lt_i32_e32 vcc, -1, v10
	v_sub_u16_e32 v10, 0, v9
	v_cndmask_b32_e32 v9, v10, v9, vcc
	v_and_b32_e32 v9, 0xff, v9
	v_mul_hi_u32 v10, v9, s94
	v_and_b32_e32 v1, 0xff, v1
	v_lshlrev_b32_e32 v1, 16, v1
	v_mul_lo_u32 v11, s75, v10
	v_sub_u32_e32 v9, v9, v11
	v_cmp_le_u32_e64 s[28:29], s75, v9
	v_addc_co_u32_e64 v9, s[28:29], 0, v10, s[28:29]
	v_sub_u32_e32 v10, 0, v9
	v_cndmask_b32_e32 v9, v10, v9, vcc
	v_lshlrev_b32_e32 v9, 24, v9
	v_cmp_lt_i16_sdwa s[28:29], sext(v0), v34 src0_sel:BYTE_0 src1_sel:DWORD
	v_or3_b32 v8, v9, v1, v6
	s_and_b64 vcc, s[42:43], s[28:29]
	v_sub_u16_e32 v1, 0, v0
	v_cndmask_b32_e32 v1, v0, v1, vcc
	v_and_b32_e32 v1, 0xff, v1
	v_mul_hi_u32 v6, v1, s94
	v_lshrrev_b32_e32 v0, 16, v0
	v_mul_lo_u32 v9, s75, v6
	v_sub_u32_e32 v1, v1, v9
	v_cmp_le_u32_e64 s[28:29], s75, v1
	v_addc_co_u32_e64 v1, s[28:29], 0, v6, s[28:29]
	v_sub_u32_e32 v6, 0, v1
	v_and_b32_e32 v9, 0x8000, v35
	v_cndmask_b32_e32 v1, v1, v6, vcc
	v_lshrrev_b32_e32 v6, 8, v52
	v_cmp_ne_u32_e32 vcc, 0, v9
	s_and_b64 vcc, s[42:43], vcc
	v_sub_u16_e32 v9, 0, v6
	v_cndmask_b32_e32 v6, v6, v9, vcc
	v_and_b32_e32 v6, 0xff, v6
	v_mul_hi_u32 v9, v6, s94
	v_mul_lo_u32 v10, s75, v9
	v_sub_u32_e32 v6, v6, v10
	v_cmp_le_u32_e64 s[28:29], s75, v6
	v_addc_co_u32_e64 v6, s[28:29], 0, v9, s[28:29]
	v_sub_u32_e32 v9, 0, v6
	v_cmp_lt_i16_sdwa s[28:29], sext(v0), v34 src0_sel:BYTE_0 src1_sel:DWORD
	v_cndmask_b32_e32 v6, v6, v9, vcc
	s_and_b64 vcc, s[42:43], s[28:29]
	v_sub_u16_e32 v9, 0, v0
	v_cndmask_b32_e32 v0, v0, v9, vcc
	v_and_b32_e32 v0, 0xff, v0
	v_mul_hi_u32 v9, v0, s94
	v_lshlrev_b32_e32 v6, 8, v6
	v_perm_b32 v1, v6, v1, s87
	v_mul_lo_u32 v10, s75, v9
	v_sub_u32_e32 v0, v0, v10
	v_cmp_le_u32_e64 s[28:29], s75, v0
	v_addc_co_u32_e64 v0, s[28:29], 0, v9, s[28:29]
	v_sub_u32_e32 v9, 0, v0
	v_cndmask_b32_e32 v0, v0, v9, vcc
	v_lshrrev_b32_e32 v9, 24, v52
	v_and_b32_e32 v10, s48, v35
	v_cmp_lt_i32_e32 vcc, -1, v10
	v_sub_u16_e32 v10, 0, v9
	v_cndmask_b32_e32 v9, v10, v9, vcc
	v_and_b32_e32 v9, 0xff, v9
	v_mul_hi_u32 v10, v9, s94
	v_and_b32_e32 v0, 0xff, v0
	v_lshlrev_b32_e32 v0, 16, v0
	v_mul_lo_u32 v11, s75, v10
	v_sub_u32_e32 v9, v9, v11
	v_cmp_le_u32_e64 s[28:29], s75, v9
	v_addc_co_u32_e64 v9, s[28:29], 0, v10, s[28:29]
	v_sub_u32_e32 v10, 0, v9
	v_cndmask_b32_e32 v9, v10, v9, vcc
	v_lshlrev_b32_e32 v9, 24, v9
	v_cmp_lt_i16_sdwa s[28:29], sext(v50), v34 src0_sel:BYTE_0 src1_sel:DWORD
	v_or3_b32 v9, v9, v0, v1
	s_and_b64 vcc, s[42:43], s[28:29]
	v_sub_u16_e32 v0, 0, v50
	v_cndmask_b32_e32 v0, v50, v0, vcc
	v_and_b32_e32 v0, 0xff, v0
	v_mul_hi_u32 v1, v0, s94
	v_mul_lo_u32 v6, s75, v1
	v_sub_u32_e32 v0, v0, v6
	v_cmp_le_u32_e64 s[28:29], s75, v0
	v_addc_co_u32_e64 v0, s[28:29], 0, v1, s[28:29]
	v_sub_u32_e32 v1, 0, v0
	v_and_b32_e32 v6, 0x8000, v30
	v_cndmask_b32_e32 v0, v0, v1, vcc
	v_lshrrev_b32_e32 v1, 8, v19
	v_cmp_ne_u32_e32 vcc, 0, v6
	s_and_b64 vcc, s[42:43], vcc
	v_sub_u16_e32 v6, 0, v1
	v_cndmask_b32_e32 v1, v1, v6, vcc
	v_and_b32_e32 v1, 0xff, v1
	v_mul_hi_u32 v6, v1, s94
	v_mul_lo_u32 v10, s75, v6
	v_sub_u32_e32 v1, v1, v10
	v_cmp_le_u32_e64 s[28:29], s75, v1
	v_addc_co_u32_e64 v1, s[28:29], 0, v6, s[28:29]
	v_sub_u32_e32 v6, 0, v1
	v_cndmask_b32_e32 v1, v1, v6, vcc
	v_lshrrev_b32_e32 v6, 16, v50
	v_cmp_lt_i16_sdwa s[28:29], sext(v6), v34 src0_sel:BYTE_0 src1_sel:DWORD
	s_and_b64 vcc, s[42:43], s[28:29]
	v_sub_u16_e32 v10, 0, v6
	v_cndmask_b32_e32 v6, v6, v10, vcc
	v_and_b32_e32 v6, 0xff, v6
	v_mul_hi_u32 v10, v6, s94
	v_lshlrev_b32_e32 v1, 8, v1
	v_perm_b32 v0, v1, v0, s87
	v_mul_lo_u32 v11, s75, v10
	v_sub_u32_e32 v6, v6, v11
	v_cmp_le_u32_e64 s[28:29], s75, v6
	v_addc_co_u32_e64 v6, s[28:29], 0, v10, s[28:29]
	v_sub_u32_e32 v10, 0, v6
	v_cndmask_b32_e32 v6, v6, v10, vcc
	v_lshrrev_b32_e32 v10, 24, v19
	v_and_b32_e32 v11, s48, v30
	v_cmp_lt_i32_e32 vcc, -1, v11
	v_sub_u16_e32 v11, 0, v10
	v_cndmask_b32_e32 v10, v11, v10, vcc
	v_and_b32_e32 v10, 0xff, v10
	v_mul_hi_u32 v11, v10, s94
	v_and_b32_e32 v6, 0xff, v6
	v_lshlrev_b32_e32 v6, 16, v6
	buffer_load_dword v30, off, s[0:3], s33 offset:68 ; 4-byte Folded Reload
	v_mul_lo_u32 v19, s75, v11
	v_sub_u32_e32 v10, v10, v19
	v_cmp_le_u32_e64 s[28:29], s75, v10
	v_addc_co_u32_e64 v10, s[28:29], 0, v11, s[28:29]
	v_sub_u32_e32 v11, 0, v10
	v_cndmask_b32_e32 v10, v11, v10, vcc
	v_lshlrev_b32_e32 v10, 24, v10
	v_cmp_lt_i16_sdwa s[28:29], sext(v5), v34 src0_sel:BYTE_0 src1_sel:DWORD
	v_or3_b32 v10, v10, v6, v0
	s_and_b64 vcc, s[42:43], s[28:29]
	v_sub_u16_e32 v0, 0, v5
	v_cndmask_b32_e32 v0, v5, v0, vcc
	v_and_b32_e32 v0, 0xff, v0
	v_mul_hi_u32 v1, v0, s94
	v_lshrrev_b32_e32 v5, 16, v5
	v_mul_lo_u32 v6, s75, v1
	v_sub_u32_e32 v0, v0, v6
	v_cmp_le_u32_e64 s[28:29], s75, v0
	v_addc_co_u32_e64 v0, s[28:29], 0, v1, s[28:29]
	v_sub_u32_e32 v1, 0, v0
	v_and_b32_e32 v6, 0x8000, v39
	v_cndmask_b32_e32 v0, v0, v1, vcc
	v_lshrrev_b32_e32 v1, 8, v38
	v_cmp_ne_u32_e32 vcc, 0, v6
	s_and_b64 vcc, s[42:43], vcc
	v_sub_u16_e32 v6, 0, v1
	v_cndmask_b32_e32 v1, v1, v6, vcc
	v_and_b32_e32 v1, 0xff, v1
	v_mul_hi_u32 v6, v1, s94
	v_mul_lo_u32 v11, s75, v6
	v_sub_u32_e32 v1, v1, v11
	v_cmp_le_u32_e64 s[28:29], s75, v1
	v_addc_co_u32_e64 v1, s[28:29], 0, v6, s[28:29]
	v_sub_u32_e32 v6, 0, v1
	v_cmp_lt_i16_sdwa s[28:29], sext(v5), v34 src0_sel:BYTE_0 src1_sel:DWORD
	v_cndmask_b32_e32 v1, v1, v6, vcc
	s_and_b64 vcc, s[42:43], s[28:29]
	v_sub_u16_e32 v6, 0, v5
	v_cndmask_b32_e32 v5, v5, v6, vcc
	v_and_b32_e32 v5, 0xff, v5
	v_mul_hi_u32 v6, v5, s94
	v_lshlrev_b32_e32 v1, 8, v1
	v_perm_b32 v0, v1, v0, s87
	v_mul_lo_u32 v11, s75, v6
	v_sub_u32_e32 v5, v5, v11
	v_cmp_le_u32_e64 s[28:29], s75, v5
	v_addc_co_u32_e64 v5, s[28:29], 0, v6, s[28:29]
	v_sub_u32_e32 v6, 0, v5
	v_cndmask_b32_e32 v5, v5, v6, vcc
	v_lshrrev_b32_e32 v6, 24, v38
	v_and_b32_e32 v11, s48, v39
	v_cmp_lt_i32_e32 vcc, -1, v11
	v_sub_u16_e32 v11, 0, v6
	v_cndmask_b32_e32 v6, v11, v6, vcc
	v_and_b32_e32 v6, 0xff, v6
	v_mul_hi_u32 v11, v6, s94
	v_and_b32_e32 v5, 0xff, v5
	v_lshlrev_b32_e32 v5, 16, v5
	buffer_load_dword v39, off, s[0:3], s33 offset:56 ; 4-byte Folded Reload
	v_mul_lo_u32 v19, s75, v11
	v_sub_u32_e32 v6, v6, v19
	v_cmp_le_u32_e64 s[28:29], s75, v6
	v_addc_co_u32_e64 v6, s[28:29], 0, v11, s[28:29]
	v_sub_u32_e32 v11, 0, v6
	v_cndmask_b32_e32 v6, v11, v6, vcc
	v_lshlrev_b32_e32 v6, 24, v6
	v_cmp_lt_i16_sdwa s[28:29], sext(v61), v34 src0_sel:BYTE_0 src1_sel:DWORD
	v_or3_b32 v11, v6, v5, v0
	s_and_b64 vcc, s[42:43], s[28:29]
	v_sub_u16_e32 v0, 0, v61
	v_cndmask_b32_e32 v0, v61, v0, vcc
	v_and_b32_e32 v0, 0xff, v0
	v_mul_hi_u32 v1, v0, s94
	v_mul_lo_u32 v5, s75, v1
	v_sub_u32_e32 v0, v0, v5
	v_cmp_le_u32_e64 s[28:29], s75, v0
	v_addc_co_u32_e64 v0, s[28:29], 0, v1, s[28:29]
	v_sub_u32_e32 v1, 0, v0
	v_and_b32_e32 v5, 0x8000, v4
	v_cndmask_b32_e32 v0, v0, v1, vcc
	v_lshrrev_b32_e32 v1, 8, v12
	v_cmp_ne_u32_e32 vcc, 0, v5
	s_and_b64 vcc, s[42:43], vcc
	v_sub_u16_e32 v5, 0, v1
	v_cndmask_b32_e32 v1, v1, v5, vcc
	v_and_b32_e32 v1, 0xff, v1
	v_mul_hi_u32 v5, v1, s94
	v_and_b32_e32 v4, s48, v4
	v_mul_lo_u32 v6, s75, v5
	v_sub_u32_e32 v1, v1, v6
	v_cmp_le_u32_e64 s[28:29], s75, v1
	v_addc_co_u32_e64 v1, s[28:29], 0, v5, s[28:29]
	v_sub_u32_e32 v5, 0, v1
	v_cndmask_b32_e32 v1, v1, v5, vcc
	v_lshrrev_b32_e32 v5, 16, v61
	v_cmp_lt_i16_sdwa s[28:29], sext(v5), v34 src0_sel:BYTE_0 src1_sel:DWORD
	s_and_b64 vcc, s[42:43], s[28:29]
	v_sub_u16_e32 v6, 0, v5
	v_cndmask_b32_e32 v5, v5, v6, vcc
	v_and_b32_e32 v5, 0xff, v5
	v_mul_hi_u32 v6, v5, s94
	v_lshlrev_b32_e32 v1, 8, v1
	v_perm_b32 v0, v1, v0, s87
	v_mul_lo_u32 v19, s75, v6
	v_sub_u32_e32 v5, v5, v19
	v_cmp_le_u32_e64 s[28:29], s75, v5
	v_addc_co_u32_e64 v5, s[28:29], 0, v6, s[28:29]
	v_sub_u32_e32 v6, 0, v5
	v_cndmask_b32_e32 v5, v5, v6, vcc
	v_lshrrev_b32_e32 v6, 24, v12
	v_cmp_lt_i32_e32 vcc, -1, v4
	v_sub_u16_e32 v4, 0, v6
	v_cndmask_b32_e32 v4, v4, v6, vcc
	v_and_b32_e32 v4, 0xff, v4
	v_mul_hi_u32 v6, v4, s94
	v_and_b32_e32 v5, 0xff, v5
	v_lshlrev_b32_e32 v5, 16, v5
	s_waitcnt vmcnt(0)
	v_sub_u32_e32 v53, v53, v39
	v_mul_lo_u32 v12, s75, v6
	v_sub_u32_e32 v4, v4, v12
	v_cmp_le_u32_e64 s[28:29], s75, v4
	v_addc_co_u32_e64 v4, s[28:29], 0, v6, s[28:29]
	v_sub_u32_e32 v6, 0, v4
	v_cndmask_b32_e32 v4, v6, v4, vcc
	v_lshlrev_b32_e32 v4, 24, v4
	v_cmp_lt_i16_sdwa s[28:29], sext(v51), v34 src0_sel:BYTE_0 src1_sel:DWORD
	v_or3_b32 v12, v4, v5, v0
	s_and_b64 vcc, s[42:43], s[28:29]
	v_sub_u16_e32 v0, 0, v51
	v_cndmask_b32_e32 v0, v51, v0, vcc
	v_and_b32_e32 v0, 0xff, v0
	v_mul_hi_u32 v1, v0, s94
	v_mul_lo_u32 v4, s75, v1
	v_sub_u32_e32 v0, v0, v4
	v_cmp_le_u32_e64 s[28:29], s75, v0
	v_addc_co_u32_e64 v0, s[28:29], 0, v1, s[28:29]
	v_sub_u32_e32 v1, 0, v0
	v_and_b32_e32 v4, 0x8000, v43
	v_cndmask_b32_e32 v0, v0, v1, vcc
	v_lshrrev_b32_e32 v1, 8, v13
	v_cmp_ne_u32_e32 vcc, 0, v4
	s_and_b64 vcc, s[42:43], vcc
	v_sub_u16_e32 v4, 0, v1
	v_cndmask_b32_e32 v1, v1, v4, vcc
	v_and_b32_e32 v1, 0xff, v1
	v_mul_hi_u32 v4, v1, s94
	v_mul_lo_u32 v5, s75, v4
	v_sub_u32_e32 v1, v1, v5
	v_cmp_le_u32_e64 s[28:29], s75, v1
	v_addc_co_u32_e64 v1, s[28:29], 0, v4, s[28:29]
	v_sub_u32_e32 v4, 0, v1
	v_cndmask_b32_e32 v1, v1, v4, vcc
	v_lshrrev_b32_e32 v4, 16, v51
	v_cmp_lt_i16_sdwa s[28:29], sext(v4), v34 src0_sel:BYTE_0 src1_sel:DWORD
	s_and_b64 vcc, s[42:43], s[28:29]
	v_sub_u16_e32 v5, 0, v4
	v_cndmask_b32_e32 v4, v4, v5, vcc
	v_and_b32_e32 v4, 0xff, v4
	v_mul_hi_u32 v5, v4, s94
	v_lshlrev_b32_e32 v1, 8, v1
	v_perm_b32 v0, v1, v0, s87
	v_mul_lo_u32 v6, s75, v5
	v_sub_u32_e32 v4, v4, v6
	v_cmp_le_u32_e64 s[28:29], s75, v4
	v_addc_co_u32_e64 v4, s[28:29], 0, v5, s[28:29]
	v_sub_u32_e32 v5, 0, v4
	v_cndmask_b32_e32 v4, v4, v5, vcc
	v_lshrrev_b32_e32 v5, 24, v13
	v_and_b32_e32 v6, s48, v43
	v_cmp_lt_i32_e32 vcc, -1, v6
	v_sub_u16_e32 v6, 0, v5
	v_cndmask_b32_e32 v5, v6, v5, vcc
	v_and_b32_e32 v5, 0xff, v5
	v_mul_hi_u32 v6, v5, s94
	v_and_b32_e32 v4, 0xff, v4
	v_lshlrev_b32_e32 v4, 16, v4
	v_mul_lo_u32 v13, s75, v6
	v_sub_u32_e32 v5, v5, v13
	v_cmp_le_u32_e64 s[28:29], s75, v5
	v_addc_co_u32_e64 v5, s[28:29], 0, v6, s[28:29]
	v_sub_u32_e32 v6, 0, v5
	v_cndmask_b32_e32 v5, v6, v5, vcc
	v_lshlrev_b32_e32 v5, 24, v5
	v_cmp_lt_i16_sdwa s[28:29], sext(v42), v34 src0_sel:BYTE_0 src1_sel:DWORD
	v_or3_b32 v13, v5, v4, v0
	s_and_b64 vcc, s[42:43], s[28:29]
	v_sub_u16_e32 v0, 0, v42
	v_cndmask_b32_e32 v0, v42, v0, vcc
	v_and_b32_e32 v0, 0xff, v0
	v_mul_hi_u32 v1, v0, s94
	v_mul_lo_u32 v4, s75, v1
	v_sub_u32_e32 v0, v0, v4
	v_cmp_le_u32_e64 s[28:29], s75, v0
	v_addc_co_u32_e64 v0, s[28:29], 0, v1, s[28:29]
	v_sub_u32_e32 v1, 0, v0
	v_and_b32_e32 v4, 0x8000, v41
	v_cndmask_b32_e32 v0, v0, v1, vcc
	v_lshrrev_b32_e32 v1, 8, v14
	v_cmp_ne_u32_e32 vcc, 0, v4
	s_and_b64 vcc, s[42:43], vcc
	v_sub_u16_e32 v4, 0, v1
	v_cndmask_b32_e32 v1, v1, v4, vcc
	v_and_b32_e32 v1, 0xff, v1
	v_mul_hi_u32 v4, v1, s94
	v_mul_lo_u32 v5, s75, v4
	v_sub_u32_e32 v1, v1, v5
	v_cmp_le_u32_e64 s[28:29], s75, v1
	v_addc_co_u32_e64 v1, s[28:29], 0, v4, s[28:29]
	v_sub_u32_e32 v4, 0, v1
	v_cndmask_b32_e32 v1, v1, v4, vcc
	v_lshrrev_b32_e32 v4, 16, v42
	v_cmp_lt_i16_sdwa s[28:29], sext(v4), v34 src0_sel:BYTE_0 src1_sel:DWORD
	s_and_b64 vcc, s[42:43], s[28:29]
	v_sub_u16_e32 v5, 0, v4
	v_cndmask_b32_e32 v4, v4, v5, vcc
	v_and_b32_e32 v4, 0xff, v4
	v_mul_hi_u32 v5, v4, s94
	v_lshlrev_b32_e32 v1, 8, v1
	v_perm_b32 v0, v1, v0, s87
	v_mul_lo_u32 v6, s75, v5
	v_sub_u32_e32 v4, v4, v6
	v_cmp_le_u32_e64 s[28:29], s75, v4
	v_addc_co_u32_e64 v4, s[28:29], 0, v5, s[28:29]
	v_sub_u32_e32 v5, 0, v4
	v_cndmask_b32_e32 v4, v4, v5, vcc
	v_lshrrev_b32_e32 v5, 24, v14
	v_and_b32_e32 v6, s48, v41
	v_cmp_lt_i32_e32 vcc, -1, v6
	v_sub_u16_e32 v6, 0, v5
	v_cndmask_b32_e32 v5, v6, v5, vcc
	v_and_b32_e32 v5, 0xff, v5
	v_mul_hi_u32 v6, v5, s94
	v_and_b32_e32 v4, 0xff, v4
	v_lshlrev_b32_e32 v4, 16, v4
	v_mul_lo_u32 v14, s75, v6
	v_sub_u32_e32 v5, v5, v14
	v_cmp_le_u32_e64 s[28:29], s75, v5
	v_addc_co_u32_e64 v5, s[28:29], 0, v6, s[28:29]
	v_sub_u32_e32 v6, 0, v5
	v_cndmask_b32_e32 v5, v6, v5, vcc
	v_lshlrev_b32_e32 v5, 24, v5
	v_cmp_lt_i16_sdwa s[28:29], sext(v40), v34 src0_sel:BYTE_0 src1_sel:DWORD
	v_or3_b32 v14, v5, v4, v0
	s_and_b64 vcc, s[42:43], s[28:29]
	v_sub_u16_e32 v0, 0, v40
	v_cndmask_b32_e32 v0, v40, v0, vcc
	v_and_b32_e32 v0, 0xff, v0
	v_mul_hi_u32 v1, v0, s94
	v_mul_lo_u32 v4, s75, v1
	v_sub_u32_e32 v0, v0, v4
	v_cmp_le_u32_e64 s[28:29], s75, v0
	v_addc_co_u32_e64 v0, s[28:29], 0, v1, s[28:29]
	v_sub_u32_e32 v1, 0, v0
	v_cndmask_b32_e32 v4, v0, v1, vcc
	v_and_b32_e32 v1, 0x8000, v15
	v_lshrrev_b32_e32 v0, 8, v3
	v_cmp_ne_u32_e32 vcc, 0, v1
	s_and_b64 vcc, s[42:43], vcc
	v_sub_u16_e32 v1, 0, v0
	v_cndmask_b32_e32 v0, v0, v1, vcc
	v_and_b32_e32 v0, 0xff, v0
	v_mul_hi_u32 v1, v0, s94
	v_mul_lo_u32 v5, s75, v1
	v_sub_u32_e32 v0, v0, v5
	v_cmp_le_u32_e64 s[28:29], s75, v0
	v_addc_co_u32_e64 v0, s[28:29], 0, v1, s[28:29]
	v_sub_u32_e32 v1, 0, v0
	v_cndmask_b32_e32 v0, v0, v1, vcc
	v_lshlrev_b32_e32 v5, 8, v0
	v_lshrrev_b32_e32 v0, 16, v40
	v_cmp_lt_i16_sdwa s[28:29], sext(v0), v34 src0_sel:BYTE_0 src1_sel:DWORD
	s_and_b64 vcc, s[42:43], s[28:29]
	v_sub_u16_e32 v1, 0, v0
	v_cndmask_b32_e32 v0, v0, v1, vcc
	v_and_b32_e32 v0, 0xff, v0
	v_mul_hi_u32 v1, v0, s94
	v_mul_lo_u32 v6, s75, v1
	v_sub_u32_e32 v0, v0, v6
	v_cmp_le_u32_e64 s[28:29], s75, v0
	v_addc_co_u32_e64 v0, s[28:29], 0, v1, s[28:29]
	v_sub_u32_e32 v1, 0, v0
	v_cndmask_b32_e32 v0, v0, v1, vcc
	v_and_b32_e32 v19, 0xff, v0
	v_lshrrev_b32_e32 v0, 24, v3
	v_and_b32_e32 v1, s48, v15
	v_cmp_lt_i32_e32 vcc, -1, v1
	v_sub_u16_e32 v1, 0, v0
	v_cndmask_b32_e32 v0, v1, v0, vcc
	v_and_b32_e32 v0, 0xff, v0
	v_mul_hi_u32 v1, v0, s94
	v_mul_lo_u32 v3, s75, v1
	v_sub_u32_e32 v0, v0, v3
	v_cmp_le_u32_e64 s[28:29], s75, v0
	v_addc_co_u32_e64 v0, s[28:29], 0, v1, s[28:29]
	v_sub_u32_e32 v1, 0, v0
	v_cndmask_b32_e32 v0, v1, v0, vcc
	v_add_co_u32_e32 v44, vcc, v44, v30
	v_addc_co_u32_e32 v45, vcc, 0, v45, vcc
	v_add_co_u32_e32 v46, vcc, v46, v30
	v_lshlrev_b32_e32 v1, 16, v19
	v_lshlrev_b32_e32 v0, 24, v0
	v_perm_b32 v3, v5, v4, s87
	v_addc_co_u32_e32 v47, vcc, 0, v47, vcc
	v_or3_b32 v15, v0, v1, v3
	global_store_dwordx4 v[55:56], v[8:11], off glc slc
	global_store_dwordx4 v[55:56], v[12:15], off offset:1024 glc slc
	global_store_dwordx4 v[57:58], v[8:11], off glc slc
	global_store_dwordx4 v[57:58], v[12:15], off offset:1024 glc slc
	v_add_co_u32_e32 v55, vcc, v55, v30
	v_addc_co_u32_e32 v56, vcc, 0, v56, vcc
	v_add_co_u32_e32 v57, vcc, v57, v30
	v_addc_co_u32_e32 v58, vcc, 0, v58, vcc
	v_cmp_gt_i32_e32 vcc, 1, v53
	s_or_b64 s[92:93], vcc, s[92:93]
	s_andn2_b64 exec, exec, s[92:93]
	s_cbranch_execnz .LBB4_568
; %bb.569:                              ;   in Loop: Header=BB4_491 Depth=2
	s_or_b64 exec, exec, s[92:93]
	buffer_load_dword v16, off, s[0:3], s33 offset:92 ; 4-byte Folded Reload
	buffer_load_dword v17, off, s[0:3], s33 offset:96 ; 4-byte Folded Reload
	;; [unrolled: 1-line block ×22, first 2 shown]
	v_mov_b32_e32 v50, v7
.LBB4_570:                              ;   in Loop: Header=BB4_491 Depth=2
	s_or_b64 exec, exec, s[40:41]
	s_waitcnt vmcnt(0)
	v_lshlrev_b32_e32 v3, 11, v1
	v_cmp_ne_u32_e32 vcc, v50, v3
                                        ; implicit-def: $vgpr44
                                        ; implicit-def: $vgpr55
                                        ; implicit-def: $vgpr45
	s_and_saveexec_b64 s[92:93], vcc
	s_cbranch_execz .LBB4_578
; %bb.571:                              ;   in Loop: Header=BB4_491 Depth=2
	buffer_load_dword v2, off, s[0:3], s33 offset:160 ; 4-byte Folded Reload
	v_lshlrev_b32_e32 v0, 6, v53
	v_sub_u32_e32 v1, v50, v3
	s_waitcnt vmcnt(0)
	v_sub_u32_e32 v0, v2, v0
	v_ashrrev_i32_e32 v4, 31, v0
	v_lshrrev_b32_e32 v4, 26, v4
	v_add_u32_e32 v4, v0, v4
	v_ashrrev_i32_e32 v5, 6, v4
	v_and_b32_e32 v4, 0xffffffc0, v4
	v_sub_u32_e32 v53, v0, v4
	v_ashrrev_i32_e32 v4, 31, v1
	v_lshrrev_b32_e32 v4, 22, v4
	v_add_u32_e32 v4, v1, v4
	v_and_b32_e32 v55, 0xfffffc00, v4
	v_lshlrev_b32_e32 v0, 4, v53
	v_sub_u32_e32 v40, v1, v55
	v_lshl_add_u32 v0, v5, 10, v0
	v_ashrrev_i32_e32 v6, 10, v4
	v_cmp_lt_i32_e64 s[28:29], 15, v40
	v_sub_u32_e32 v41, v1, v0
	v_addc_co_u32_e64 v1, vcc, 0, v6, s[28:29]
	v_sub_u32_e32 v51, v1, v5
	v_cmp_lt_i32_e32 vcc, 15, v41
	s_and_saveexec_b64 s[94:95], vcc
	s_cbranch_execz .LBB4_577
; %bb.572:                              ;   in Loop: Header=BB4_491 Depth=2
	v_cvt_f32_u32_e32 v1, s75
	v_add_u32_e32 v4, v0, v3
	s_trap 2
	v_add_co_u32_e32 v12, vcc, v4, v26
	v_rcp_iflag_f32_e32 v1, v1
	v_ashrrev_i32_e32 v6, 31, v4
	s_sub_i32 s8, 0, s75
	s_mov_b64 s[34:35], 0
	v_mul_f32_e32 v0, 0x4f7ffffe, v1
	v_cvt_u32_f32_e32 v5, v0
	ds_read_b64 v[0:1], v0
	buffer_store_dword v26, off, s[0:3], s33 offset:200 ; 4-byte Folded Spill
	s_nop 0
	buffer_store_dword v27, off, s[0:3], s33 offset:204 ; 4-byte Folded Spill
	v_readfirstlane_b32 s40, v5
	s_mul_i32 s8, s8, s40
	s_mul_hi_u32 s8, s40, s8
	s_add_i32 s40, s40, s8
	s_mul_hi_u32 s8, s40, -1
	s_mul_i32 s40, s8, s75
	s_not_b32 s40, s40
	s_add_i32 s41, s8, 1
	s_sub_i32 s42, s40, s75
	s_cmp_ge_u32 s40, s75
	s_cselect_b32 s8, s41, s8
	s_cselect_b32 s40, s42, s40
	s_add_i32 s41, s8, 1
	s_cmp_ge_u32 s40, s75
	s_cselect_b32 s49, s41, s8
	s_cmp_lt_i32 s48, 0
	s_cselect_b64 s[30:31], -1, 0
	v_addc_co_u32_e32 v13, vcc, v6, v27, vcc
	s_waitcnt lgkmcnt(0)
	v_add_co_u32_e32 v14, vcc, v0, v4
	v_addc_co_u32_e32 v15, vcc, v1, v6, vcc
	v_mov_b32_e32 v0, v42
	v_mov_b32_e32 v1, v43
	v_add_co_u32_e32 v42, vcc, v4, v24
	buffer_store_dword v24, off, s[0:3], s33 offset:152 ; 4-byte Folded Spill
	s_nop 0
	buffer_store_dword v25, off, s[0:3], s33 offset:156 ; 4-byte Folded Spill
	v_mov_b32_e32 v47, v1
	v_mov_b32_e32 v46, v0
	v_addc_co_u32_e32 v43, vcc, v6, v25, vcc
	v_add_co_u32_e32 v44, vcc, v4, v0
	v_addc_co_u32_e32 v45, vcc, v6, v1, vcc
.LBB4_573:                              ;   Parent Loop BB4_47 Depth=1
                                        ;     Parent Loop BB4_491 Depth=2
                                        ; =>    This Loop Header: Depth=3
                                        ;         Child Loop BB4_574 Depth 4
	global_load_dwordx4 v[24:27], v[12:13], off glc slc
	global_load_dwordx4 v[8:11], v[14:15], off glc slc
	s_mov_b64 s[36:37], -1
	s_mov_b64 s[38:39], 0
	s_waitcnt vmcnt(0)
	v_and_b32_e32 v0, 0xff00ff, v8
	v_and_b32_e32 v1, 0xff00ff00, v8
	;; [unrolled: 1-line block ×6, first 2 shown]
	v_add_u32_e32 v8, v0, v8
	v_add_u32_e32 v39, v4, v9
	v_and_b32_e32 v4, 0xff00ff00, v25
	v_and_b32_e32 v6, 0xff00ff, v10
	v_add_u32_e32 v9, v5, v4
	v_and_b32_e32 v4, 0xff00ff, v26
	v_cmp_lt_i16_sdwa s[40:41], sext(v8), v34 src0_sel:BYTE_0 src1_sel:DWORD
	v_add_u32_e32 v19, v6, v4
	s_and_b64 vcc, s[30:31], s[40:41]
	v_sub_u16_e32 v6, 0, v8
	v_cndmask_b32_e32 v6, v8, v6, vcc
	v_and_b32_e32 v6, 0xff, v6
	v_and_b32_e32 v0, 0xff00ff00, v24
	v_mul_hi_u32 v24, v6, s49
	v_and_b32_e32 v10, 0xff00ff00, v10
	v_add_u32_e32 v0, v1, v0
	v_and_b32_e32 v4, 0xff00ff00, v26
	v_mul_lo_u32 v25, s75, v24
	v_and_b32_e32 v31, 0xff00ff, v11
	v_perm_b32 v1, v0, v8, s64
	v_add_u32_e32 v5, v10, v4
	v_sub_u32_e32 v6, v6, v25
	v_cmp_le_u32_e64 s[40:41], s75, v6
	v_addc_co_u32_e64 v6, s[40:41], 0, v24, s[40:41]
	v_and_b32_e32 v4, 0xff00ff, v27
	v_sub_u32_e32 v24, 0, v6
	v_add_u32_e32 v38, v31, v4
	v_cndmask_b32_e32 v31, v6, v24, vcc
	v_and_b32_e32 v24, 0x8000, v1
	v_lshrrev_b32_e32 v6, 8, v0
	v_cmp_ne_u32_e32 vcc, 0, v24
	s_and_b64 vcc, s[30:31], vcc
	v_sub_u16_e32 v24, 0, v6
	v_cndmask_b32_e32 v6, v6, v24, vcc
	v_and_b32_e32 v6, 0xff, v6
	v_mul_hi_u32 v24, v6, s49
	v_lshrrev_b32_e32 v8, 16, v8
	v_lshrrev_b32_e32 v0, 24, v0
	v_and_b32_e32 v1, s48, v1
	v_mul_lo_u32 v25, s75, v24
	v_perm_b32 v30, v9, v39, s64
	v_perm_b32 v10, v5, v19, s64
	v_and_b32_e32 v11, 0xff00ff00, v11
	v_sub_u32_e32 v6, v6, v25
	v_cmp_le_u32_e64 s[40:41], s75, v6
	v_addc_co_u32_e64 v6, s[40:41], 0, v24, s[40:41]
	v_sub_u32_e32 v24, 0, v6
	v_cmp_lt_i16_sdwa s[40:41], sext(v8), v34 src0_sel:BYTE_0 src1_sel:DWORD
	v_cndmask_b32_e32 v6, v6, v24, vcc
	s_and_b64 vcc, s[30:31], s[40:41]
	v_sub_u16_e32 v24, 0, v8
	v_cndmask_b32_e32 v8, v8, v24, vcc
	v_and_b32_e32 v8, 0xff, v8
	v_mul_hi_u32 v24, v8, s49
	v_lshlrev_b32_e32 v6, 8, v6
	v_perm_b32 v6, v6, v31, s87
	v_and_b32_e32 v4, 0xff00ff00, v27
	v_mul_lo_u32 v25, s75, v24
	v_add_u32_e32 v4, v11, v4
	v_perm_b32 v11, v4, v38, s64
	v_sub_u32_e32 v8, v8, v25
	v_cmp_le_u32_e64 s[40:41], s75, v8
	v_addc_co_u32_e64 v8, s[40:41], 0, v24, s[40:41]
	v_sub_u32_e32 v24, 0, v8
	v_cndmask_b32_e32 v8, v8, v24, vcc
	v_cmp_lt_i32_e32 vcc, -1, v1
	v_sub_u16_e32 v1, 0, v0
	v_cndmask_b32_e32 v0, v1, v0, vcc
	v_and_b32_e32 v0, 0xff, v0
	v_mul_hi_u32 v1, v0, s49
	v_and_b32_e32 v8, 0xff, v8
	v_mul_lo_u32 v24, s75, v1
	v_sub_u32_e32 v0, v0, v24
	v_cmp_le_u32_e64 s[40:41], s75, v0
	v_addc_co_u32_e64 v0, s[40:41], 0, v1, s[40:41]
	v_sub_u32_e32 v1, 0, v0
	v_cndmask_b32_e32 v0, v1, v0, vcc
	v_lshlrev_b32_e32 v1, 16, v8
	v_lshlrev_b32_e32 v0, 24, v0
	v_cmp_lt_i16_sdwa s[40:41], sext(v39), v34 src0_sel:BYTE_0 src1_sel:DWORD
	v_or3_b32 v8, v0, v1, v6
	s_and_b64 vcc, s[30:31], s[40:41]
	v_sub_u16_e32 v0, 0, v39
	v_cndmask_b32_e32 v0, v39, v0, vcc
	v_and_b32_e32 v0, 0xff, v0
	v_mul_hi_u32 v1, v0, s49
	v_mul_lo_u32 v6, s75, v1
	v_sub_u32_e32 v0, v0, v6
	v_cmp_le_u32_e64 s[40:41], s75, v0
	v_addc_co_u32_e64 v0, s[40:41], 0, v1, s[40:41]
	v_sub_u32_e32 v1, 0, v0
	v_and_b32_e32 v6, 0x8000, v30
	v_cndmask_b32_e32 v0, v0, v1, vcc
	v_lshrrev_b32_e32 v1, 8, v9
	v_cmp_ne_u32_e32 vcc, 0, v6
	s_and_b64 vcc, s[30:31], vcc
	v_sub_u16_e32 v6, 0, v1
	v_cndmask_b32_e32 v1, v1, v6, vcc
	v_and_b32_e32 v1, 0xff, v1
	v_mul_hi_u32 v6, v1, s49
	v_lshrrev_b32_e32 v9, 24, v9
	v_mul_lo_u32 v24, s75, v6
	v_sub_u32_e32 v1, v1, v24
	v_cmp_le_u32_e64 s[40:41], s75, v1
	v_addc_co_u32_e64 v1, s[40:41], 0, v6, s[40:41]
	v_sub_u32_e32 v6, 0, v1
	v_cndmask_b32_e32 v1, v1, v6, vcc
	v_lshrrev_b32_e32 v6, 16, v39
	v_cmp_lt_i16_sdwa s[40:41], sext(v6), v34 src0_sel:BYTE_0 src1_sel:DWORD
	s_and_b64 vcc, s[30:31], s[40:41]
	v_sub_u16_e32 v24, 0, v6
	v_cndmask_b32_e32 v6, v6, v24, vcc
	v_and_b32_e32 v6, 0xff, v6
	v_mul_hi_u32 v24, v6, s49
	v_lshlrev_b32_e32 v1, 8, v1
	v_perm_b32 v0, v1, v0, s87
	v_mul_lo_u32 v25, s75, v24
	v_sub_u32_e32 v6, v6, v25
	v_cmp_le_u32_e64 s[40:41], s75, v6
	v_addc_co_u32_e64 v6, s[40:41], 0, v24, s[40:41]
	v_sub_u32_e32 v24, 0, v6
	v_cndmask_b32_e32 v6, v6, v24, vcc
	v_and_b32_e32 v24, s48, v30
	v_cmp_lt_i32_e32 vcc, -1, v24
	v_sub_u16_e32 v24, 0, v9
	v_cndmask_b32_e32 v9, v24, v9, vcc
	v_and_b32_e32 v9, 0xff, v9
	v_mul_hi_u32 v24, v9, s49
	v_and_b32_e32 v6, 0xff, v6
	v_lshlrev_b32_e32 v6, 16, v6
	v_mul_lo_u32 v25, s75, v24
	v_sub_u32_e32 v9, v9, v25
	v_cmp_le_u32_e64 s[40:41], s75, v9
	v_addc_co_u32_e64 v9, s[40:41], 0, v24, s[40:41]
	v_sub_u32_e32 v24, 0, v9
	v_cndmask_b32_e32 v9, v24, v9, vcc
	v_lshlrev_b32_e32 v9, 24, v9
	v_cmp_lt_i16_sdwa s[40:41], sext(v19), v34 src0_sel:BYTE_0 src1_sel:DWORD
	v_or3_b32 v9, v9, v6, v0
	s_and_b64 vcc, s[30:31], s[40:41]
	v_sub_u16_e32 v0, 0, v19
	v_cndmask_b32_e32 v0, v19, v0, vcc
	v_and_b32_e32 v0, 0xff, v0
	v_mul_hi_u32 v1, v0, s49
	v_mul_lo_u32 v6, s75, v1
	v_sub_u32_e32 v0, v0, v6
	v_cmp_le_u32_e64 s[40:41], s75, v0
	v_addc_co_u32_e64 v0, s[40:41], 0, v1, s[40:41]
	v_sub_u32_e32 v1, 0, v0
	v_and_b32_e32 v6, 0x8000, v10
	v_cndmask_b32_e32 v0, v0, v1, vcc
	v_lshrrev_b32_e32 v1, 8, v5
	v_cmp_ne_u32_e32 vcc, 0, v6
	s_and_b64 vcc, s[30:31], vcc
	v_sub_u16_e32 v6, 0, v1
	v_cndmask_b32_e32 v1, v1, v6, vcc
	v_and_b32_e32 v1, 0xff, v1
	v_mul_hi_u32 v6, v1, s49
	v_lshrrev_b32_e32 v5, 24, v5
	v_and_b32_e32 v10, s48, v10
	v_mul_lo_u32 v24, s75, v6
	v_sub_u32_e32 v1, v1, v24
	v_cmp_le_u32_e64 s[40:41], s75, v1
	v_addc_co_u32_e64 v1, s[40:41], 0, v6, s[40:41]
	v_sub_u32_e32 v6, 0, v1
	v_cndmask_b32_e32 v1, v1, v6, vcc
	v_lshrrev_b32_e32 v6, 16, v19
	v_cmp_lt_i16_sdwa s[40:41], sext(v6), v34 src0_sel:BYTE_0 src1_sel:DWORD
	s_and_b64 vcc, s[30:31], s[40:41]
	v_sub_u16_e32 v19, 0, v6
	v_cndmask_b32_e32 v6, v6, v19, vcc
	v_and_b32_e32 v6, 0xff, v6
	v_mul_hi_u32 v19, v6, s49
	v_lshlrev_b32_e32 v1, 8, v1
	v_perm_b32 v0, v1, v0, s87
	v_mul_lo_u32 v24, s75, v19
	v_sub_u32_e32 v6, v6, v24
	v_cmp_le_u32_e64 s[40:41], s75, v6
	v_addc_co_u32_e64 v6, s[40:41], 0, v19, s[40:41]
	v_sub_u32_e32 v19, 0, v6
	v_cndmask_b32_e32 v6, v6, v19, vcc
	v_cmp_lt_i32_e32 vcc, -1, v10
	v_sub_u16_e32 v10, 0, v5
	v_cndmask_b32_e32 v5, v10, v5, vcc
	v_and_b32_e32 v5, 0xff, v5
	v_mul_hi_u32 v10, v5, s49
	v_and_b32_e32 v6, 0xff, v6
	v_lshlrev_b32_e32 v6, 16, v6
	v_mul_lo_u32 v19, s75, v10
	v_sub_u32_e32 v5, v5, v19
	v_cmp_le_u32_e64 s[40:41], s75, v5
	v_addc_co_u32_e64 v5, s[40:41], 0, v10, s[40:41]
	v_sub_u32_e32 v10, 0, v5
	v_cndmask_b32_e32 v5, v10, v5, vcc
	v_lshlrev_b32_e32 v5, 24, v5
	v_cmp_lt_i16_sdwa s[40:41], sext(v38), v34 src0_sel:BYTE_0 src1_sel:DWORD
	v_or3_b32 v10, v5, v6, v0
	s_and_b64 vcc, s[30:31], s[40:41]
	v_sub_u16_e32 v0, 0, v38
	v_cndmask_b32_e32 v0, v38, v0, vcc
	v_and_b32_e32 v0, 0xff, v0
	v_mul_hi_u32 v1, v0, s49
	v_mul_lo_u32 v5, s75, v1
	v_sub_u32_e32 v0, v0, v5
	v_cmp_le_u32_e64 s[40:41], s75, v0
	v_addc_co_u32_e64 v0, s[40:41], 0, v1, s[40:41]
	v_sub_u32_e32 v1, 0, v0
	v_and_b32_e32 v5, 0x8000, v11
	v_cndmask_b32_e32 v0, v0, v1, vcc
	v_lshrrev_b32_e32 v1, 8, v4
	v_cmp_ne_u32_e32 vcc, 0, v5
	s_and_b64 vcc, s[30:31], vcc
	v_sub_u16_e32 v5, 0, v1
	v_cndmask_b32_e32 v1, v1, v5, vcc
	v_and_b32_e32 v1, 0xff, v1
	v_mul_hi_u32 v5, v1, s49
	v_lshrrev_b32_e32 v4, 24, v4
	v_mul_lo_u32 v6, s75, v5
	v_sub_u32_e32 v1, v1, v6
	v_cmp_le_u32_e64 s[40:41], s75, v1
	v_addc_co_u32_e64 v1, s[40:41], 0, v5, s[40:41]
	v_sub_u32_e32 v5, 0, v1
	v_cndmask_b32_e32 v1, v1, v5, vcc
	v_lshrrev_b32_e32 v5, 16, v38
	v_cmp_lt_i16_sdwa s[40:41], sext(v5), v34 src0_sel:BYTE_0 src1_sel:DWORD
	s_and_b64 vcc, s[30:31], s[40:41]
	v_sub_u16_e32 v6, 0, v5
	v_cndmask_b32_e32 v5, v5, v6, vcc
	v_and_b32_e32 v5, 0xff, v5
	v_mul_hi_u32 v6, v5, s49
	v_lshlrev_b32_e32 v1, 8, v1
	v_perm_b32 v0, v1, v0, s87
	v_mul_lo_u32 v19, s75, v6
	v_sub_u32_e32 v5, v5, v19
	v_cmp_le_u32_e64 s[40:41], s75, v5
	v_addc_co_u32_e64 v5, s[40:41], 0, v6, s[40:41]
	v_sub_u32_e32 v6, 0, v5
	v_cndmask_b32_e32 v5, v5, v6, vcc
	v_and_b32_e32 v6, s48, v11
	v_cmp_lt_i32_e32 vcc, -1, v6
	v_sub_u16_e32 v6, 0, v4
	v_cndmask_b32_e32 v4, v6, v4, vcc
	v_and_b32_e32 v4, 0xff, v4
	v_mul_hi_u32 v6, v4, s49
	v_and_b32_e32 v5, 0xff, v5
	v_lshlrev_b32_e32 v5, 16, v5
	v_mul_lo_u32 v11, s75, v6
	v_sub_u32_e32 v4, v4, v11
	v_cmp_le_u32_e64 s[40:41], s75, v4
	v_addc_co_u32_e64 v4, s[40:41], 0, v6, s[40:41]
	v_sub_u32_e32 v6, 0, v4
	v_cndmask_b32_sdwa v4, v6, v4, vcc dst_sel:BYTE_3 dst_unused:UNUSED_PAD src0_sel:DWORD src1_sel:DWORD
	v_or3_b32 v11, v4, v5, v0
.LBB4_574:                              ;   Parent Loop BB4_47 Depth=1
                                        ;     Parent Loop BB4_491 Depth=2
                                        ;       Parent Loop BB4_573 Depth=3
                                        ; =>      This Inner Loop Header: Depth=4
	s_cmp_eq_u32 s38, 1
	s_cselect_b64 s[40:41], -1, 0
	v_cndmask_b32_e64 v1, v43, v45, s[40:41]
	v_cndmask_b32_e64 v0, v42, v44, s[40:41]
	global_store_dwordx4 v[0:1], v[8:11], off glc slc
	v_add_co_u32_e32 v0, vcc, 0x400, v0
	s_cmp_eq_u32 s38, 0
	v_addc_co_u32_e32 v1, vcc, 0, v1, vcc
	s_cselect_b64 vcc, -1, 0
	s_and_b64 s[42:43], exec, s[36:37]
	s_mov_b64 s[38:39], 1
	v_cndmask_b32_e64 v44, v44, v0, s[40:41]
	s_mov_b64 s[36:37], 0
	v_cndmask_b32_e64 v45, v45, v1, s[40:41]
	v_cndmask_b32_e32 v43, v43, v1, vcc
	v_cndmask_b32_e32 v42, v42, v0, vcc
	s_mov_b64 vcc, s[42:43]
	s_cbranch_vccnz .LBB4_574
; %bb.575:                              ;   in Loop: Header=BB4_573 Depth=3
	buffer_load_dword v0, off, s[0:3], s33 offset:76 ; 4-byte Folded Reload
	buffer_load_dword v1, off, s[0:3], s33 offset:80 ; 4-byte Folded Reload
	;; [unrolled: 1-line block ×3, first 2 shown]
	s_waitcnt vmcnt(2)
	v_add_co_u32_e32 v12, vcc, v12, v0
	s_waitcnt vmcnt(1)
	v_addc_co_u32_e32 v13, vcc, v13, v1, vcc
	v_add_co_u32_e32 v14, vcc, v14, v0
	buffer_load_dword v0, off, s[0:3], s33 offset:72 ; 4-byte Folded Reload
	v_addc_co_u32_e32 v15, vcc, v15, v1, vcc
	v_add_co_u32_e32 v42, vcc, v42, v37
	s_waitcnt vmcnt(1)
	v_sub_u32_e32 v51, v51, v39
	s_waitcnt vmcnt(0)
	v_addc_co_u32_e32 v43, vcc, v43, v0, vcc
	v_add_co_u32_e32 v44, vcc, v44, v37
	v_addc_co_u32_e32 v45, vcc, v45, v0, vcc
	buffer_load_dword v0, off, s[0:3], s33 offset:60 ; 4-byte Folded Reload
	s_waitcnt vmcnt(0)
	v_sub_u32_e32 v41, v41, v0
	v_cmp_gt_i32_e32 vcc, 16, v41
	s_or_b64 s[34:35], vcc, s[34:35]
	s_andn2_b64 exec, exec, s[34:35]
	s_cbranch_execnz .LBB4_573
; %bb.576:                              ;   in Loop: Header=BB4_491 Depth=2
	s_or_b64 exec, exec, s[34:35]
	buffer_load_dword v31, off, s[0:3], s33 offset:128 ; 4-byte Folded Reload
	buffer_load_dword v30, off, s[0:3], s33 offset:68 ; 4-byte Folded Reload
	;; [unrolled: 1-line block ×6, first 2 shown]
	v_mov_b32_e32 v42, v46
	v_mov_b32_e32 v43, v47
.LBB4_577:                              ;   in Loop: Header=BB4_491 Depth=2
	s_or_b64 exec, exec, s[94:95]
	v_and_b32_e32 v0, 15, v50
	v_cmp_lt_i32_e32 vcc, 0, v51
	v_sub_u32_e32 v1, v40, v0
	v_cndmask_b32_e64 v44, v40, v0, s[28:29]
	v_cndmask_b32_e32 v0, 0, v39, vcc
	v_sub_u32_e32 v0, v0, v51
	buffer_load_dword v51, off, s[0:3], s33 offset:60 ; 4-byte Folded Reload
	buffer_load_dword v41, off, s[0:3], s33 offset:120 ; 4-byte Folded Reload
	buffer_load_dword v40, off, s[0:3], s33 offset:112 ; 4-byte Folded Reload
	v_cmp_ne_u32_e32 vcc, 0, v44
	v_cndmask_b32_e64 v1, 0, v1, s[28:29]
	s_andn2_b64 s[28:29], s[90:91], exec
	s_and_b64 s[40:41], vcc, exec
	v_add3_u32 v55, v55, v3, v1
	v_lshl_add_u32 v45, v0, 6, v53
	s_or_b64 s[90:91], s[28:29], s[40:41]
.LBB4_578:                              ;   in Loop: Header=BB4_491 Depth=2
	s_or_b64 exec, exec, s[92:93]
	s_and_saveexec_b64 s[42:43], s[90:91]
	s_cbranch_execnz .LBB4_586
	s_branch .LBB4_596
.LBB4_579:                              ;   in Loop: Header=BB4_491 Depth=2
	s_mov_b64 s[28:29], 0
	s_and_saveexec_b64 s[40:41], s[10:11]
	s_cbranch_execnz .LBB4_627
.LBB4_580:                              ;   in Loop: Header=BB4_491 Depth=2
	s_or_b64 exec, exec, s[40:41]
                                        ; implicit-def: $vgpr0
	s_and_saveexec_b64 s[40:41], s[24:25]
	s_xor_b64 s[40:41], exec, s[40:41]
	s_cbranch_execz .LBB4_645
.LBB4_581:                              ;   in Loop: Header=BB4_491 Depth=2
	v_and_b32_e32 v1, 16, v59
	v_cmp_ne_u32_e32 vcc, 0, v1
	v_and_b32_e32 v0, 16, v59
	s_and_b64 s[42:43], vcc, s[28:29]
	s_and_saveexec_b64 s[28:29], s[42:43]
	s_cbranch_execz .LBB4_583
; %bb.582:                              ;   in Loop: Header=BB4_491 Depth=2
	v_mov_b32_e32 v0, 1
	s_waitcnt vmcnt(0) lgkmcnt(0)
	buffer_wbinvl1_vol
.LBB4_583:                              ;   in Loop: Header=BB4_491 Depth=2
	s_or_b64 exec, exec, s[28:29]
	s_andn2_saveexec_b64 s[28:29], s[40:41]
	s_cbranch_execz .LBB4_664
	s_branch .LBB4_646
.LBB4_584:                              ;   in Loop: Header=BB4_491 Depth=2
	s_mov_b64 s[90:91], 0
                                        ; implicit-def: $sgpr48
                                        ; implicit-def: $sgpr75
	s_andn2_b64 vcc, exec, s[40:41]
	v_mov_b32_e32 v55, 0
	s_cbranch_vccz .LBB4_566
.LBB4_585:                              ;   in Loop: Header=BB4_491 Depth=2
	v_mov_b32_e32 v44, v50
	v_mov_b32_e32 v45, v60
	s_and_saveexec_b64 s[42:43], s[90:91]
	s_cbranch_execz .LBB4_596
.LBB4_586:                              ;   in Loop: Header=BB4_491 Depth=2
	v_ashrrev_i32_e32 v0, 31, v45
	v_ashrrev_i32_e32 v1, 31, v44
	v_lshrrev_b32_e32 v0, 26, v0
	v_lshrrev_b32_e32 v1, 22, v1
	v_add_u32_e32 v0, v45, v0
	v_add_u32_e32 v1, v44, v1
	v_ashrrev_i32_e32 v3, 6, v0
	v_ashrrev_i32_e32 v1, 10, v1
	v_sub_u32_e32 v46, v1, v3
	v_cmp_lt_i32_e32 vcc, 0, v46
	s_and_saveexec_b64 s[40:41], vcc
	s_cbranch_execz .LBB4_590
; %bb.587:                              ;   in Loop: Header=BB4_491 Depth=2
	buffer_store_dword v1, off, s[0:3], s33 offset:240 ; 4-byte Folded Spill
	buffer_store_dword v50, off, s[0:3], s33 offset:236 ; 4-byte Folded Spill
	v_cvt_f32_u32_e32 v1, s75
	v_and_b32_e32 v0, 0xffffffc0, v0
	v_mov_b32_e32 v7, v3
	v_lshlrev_b32_e32 v3, 10, v3
	v_rcp_iflag_f32_e32 v1, v1
	v_sub_u32_e32 v0, v45, v0
	v_add3_u32 v3, v55, v0, v3
	s_trap 2
	v_mul_f32_e32 v1, 0x4f7ffffe, v1
	v_cvt_u32_f32_e32 v1, v1
	s_waitcnt vmcnt(0)
	v_add_co_u32_e32 v8, vcc, v3, v26
	v_ashrrev_i32_e32 v4, 31, v3
	v_readfirstlane_b32 s28, v1
	ds_read_b64 v[0:1], v0
	buffer_store_dword v26, off, s[0:3], s33 offset:200 ; 4-byte Folded Spill
	s_nop 0
	buffer_store_dword v27, off, s[0:3], s33 offset:204 ; 4-byte Folded Spill
	s_sub_i32 s8, 0, s75
	s_mul_i32 s8, s8, s28
	s_mul_hi_u32 s8, s28, s8
	s_add_i32 s28, s28, s8
	s_mul_hi_u32 s8, s28, -1
	s_mul_i32 s28, s8, s75
	s_not_b32 s28, s28
	s_add_i32 s29, s8, 1
	s_sub_i32 s90, s28, s75
	s_cmp_ge_u32 s28, s75
	s_cselect_b32 s8, s29, s8
	s_cselect_b32 s28, s90, s28
	s_add_i32 s29, s8, 1
	s_cmp_ge_u32 s28, s75
	s_cselect_b32 s94, s29, s8
	s_cmp_lt_i32 s48, 0
	v_mov_b32_e32 v2, v49
	s_cselect_b64 s[90:91], -1, 0
	s_mov_b64 s[92:93], 0
	v_addc_co_u32_e32 v9, vcc, v4, v27, vcc
	s_waitcnt lgkmcnt(0)
	v_add_co_u32_e32 v10, vcc, v0, v3
	v_addc_co_u32_e32 v11, vcc, v1, v4, vcc
	v_add_co_u32_e32 v12, vcc, v3, v24
	buffer_store_dword v24, off, s[0:3], s33 offset:152 ; 4-byte Folded Spill
	s_nop 0
	buffer_store_dword v25, off, s[0:3], s33 offset:156 ; 4-byte Folded Spill
	v_addc_co_u32_e32 v13, vcc, v4, v25, vcc
	v_add_co_u32_e32 v14, vcc, v3, v42
	buffer_store_dword v42, off, s[0:3], s33 offset:216 ; 4-byte Folded Spill
	s_nop 0
	buffer_store_dword v43, off, s[0:3], s33 offset:220 ; 4-byte Folded Spill
	v_addc_co_u32_e32 v15, vcc, v4, v43, vcc
.LBB4_588:                              ;   Parent Loop BB4_47 Depth=1
                                        ;     Parent Loop BB4_491 Depth=2
                                        ; =>    This Inner Loop Header: Depth=3
	flat_load_ubyte v0, v[8:9] glc slc
	flat_load_ubyte v1, v[8:9] offset:64 glc slc
	flat_load_ubyte v3, v[8:9] offset:128 glc slc
	flat_load_ubyte v4, v[8:9] offset:192 glc slc
	flat_load_ubyte v5, v[8:9] offset:256 glc slc
	flat_load_ubyte v6, v[8:9] offset:320 glc slc
	flat_load_ubyte v19, v[8:9] offset:384 glc slc
	flat_load_ubyte v24, v[8:9] offset:448 glc slc
	flat_load_ubyte v25, v[8:9] offset:512 glc slc
	flat_load_ubyte v26, v[8:9] offset:576 glc slc
	flat_load_ubyte v27, v[8:9] offset:640 glc slc
	flat_load_ubyte v30, v[8:9] offset:704 glc slc
	flat_load_ubyte v31, v[8:9] offset:768 glc slc
	flat_load_ubyte v36, v[8:9] offset:832 glc slc
	flat_load_ubyte v37, v[8:9] offset:896 glc slc
	flat_load_ubyte v39, v[8:9] offset:960 glc slc
	flat_load_ubyte v35, v[10:11] glc slc
	flat_load_ubyte v38, v[10:11] offset:64 glc slc
	flat_load_ubyte v48, v[10:11] offset:128 glc slc
	;; [unrolled: 1-line block ×15, first 2 shown]
	s_waitcnt vmcnt(0) lgkmcnt(0)
	v_add_u16_e32 v0, v35, v0
	v_cmp_lt_i16_sdwa s[28:29], sext(v0), v34 src0_sel:BYTE_0 src1_sel:DWORD
	s_and_b64 vcc, s[90:91], s[28:29]
	v_add_u16_e32 v49, v49, v4
	v_sub_u16_e32 v4, 0, v0
	v_cndmask_b32_e32 v0, v0, v4, vcc
	v_and_b32_e32 v0, 0xff, v0
	v_mul_hi_u32 v4, v0, s94
	v_add_u16_e32 v6, v51, v6
	v_add_u16_e32 v51, v52, v19
	;; [unrolled: 1-line block ×3, first 2 shown]
	v_mul_lo_u32 v19, s75, v4
	v_add_u16_e32 v48, v48, v3
	v_add_u16_e32 v47, v50, v5
	;; [unrolled: 1-line block ×3, first 2 shown]
	v_sub_u32_e32 v0, v0, v19
	v_cmp_le_u32_e64 s[28:29], s75, v0
	v_addc_co_u32_e64 v0, s[28:29], 0, v4, s[28:29]
	v_sub_u32_e32 v4, 0, v0
	v_cmp_lt_i16_sdwa s[28:29], sext(v1), v34 src0_sel:BYTE_0 src1_sel:DWORD
	v_cndmask_b32_e32 v0, v0, v4, vcc
	s_and_b64 vcc, s[90:91], s[28:29]
	v_sub_u16_e32 v4, 0, v1
	v_cndmask_b32_e32 v1, v1, v4, vcc
	v_and_b32_e32 v1, 0xff, v1
	v_mul_hi_u32 v4, v1, s94
	v_add_u16_e32 v35, v57, v31
	v_add_u16_e32 v38, v56, v30
	;; [unrolled: 1-line block ×3, first 2 shown]
	v_mul_lo_u32 v19, s75, v4
	v_add_u16_e32 v5, v61, v37
	v_add_u16_e32 v24, v40, v24
	;; [unrolled: 1-line block ×3, first 2 shown]
	v_sub_u32_e32 v1, v1, v19
	v_cmp_le_u32_e64 s[28:29], s75, v1
	v_addc_co_u32_e64 v1, s[28:29], 0, v4, s[28:29]
	v_sub_u32_e32 v4, 0, v1
	v_cmp_lt_i16_sdwa s[28:29], sext(v48), v34 src0_sel:BYTE_0 src1_sel:DWORD
	v_cndmask_b32_e32 v1, v1, v4, vcc
	s_and_b64 vcc, s[90:91], s[28:29]
	v_sub_u16_e32 v4, 0, v48
	v_cndmask_b32_e32 v4, v48, v4, vcc
	v_and_b32_e32 v4, 0xff, v4
	v_mul_hi_u32 v19, v4, s94
	v_add_u16_e32 v25, v41, v25
	v_add_u16_e32 v26, v42, v26
	v_mul_lo_u32 v27, s75, v19
	v_sub_u32_e32 v4, v4, v27
	v_cmp_le_u32_e64 s[28:29], s75, v4
	v_addc_co_u32_e64 v4, s[28:29], 0, v19, s[28:29]
	v_sub_u32_e32 v19, 0, v4
	v_cmp_lt_i16_sdwa s[28:29], sext(v49), v34 src0_sel:BYTE_0 src1_sel:DWORD
	v_cndmask_b32_e32 v4, v4, v19, vcc
	s_and_b64 vcc, s[90:91], s[28:29]
	v_sub_u16_e32 v19, 0, v49
	v_cndmask_b32_e32 v19, v49, v19, vcc
	v_and_b32_e32 v19, 0xff, v19
	v_mul_hi_u32 v27, v19, s94
	v_mul_lo_u32 v31, s75, v27
	v_sub_u32_e32 v19, v19, v31
	v_cmp_le_u32_e64 s[28:29], s75, v19
	v_addc_co_u32_e64 v19, s[28:29], 0, v27, s[28:29]
	v_sub_u32_e32 v27, 0, v19
	v_cmp_lt_i16_sdwa s[28:29], sext(v47), v34 src0_sel:BYTE_0 src1_sel:DWORD
	v_cndmask_b32_e32 v19, v19, v27, vcc
	s_and_b64 vcc, s[90:91], s[28:29]
	v_sub_u16_e32 v27, 0, v47
	v_cndmask_b32_e32 v27, v47, v27, vcc
	v_and_b32_e32 v27, 0xff, v27
	v_mul_hi_u32 v31, v27, s94
	;; [unrolled: 12-line block ×4, first 2 shown]
	buffer_load_dword v51, off, s[0:3], s33 offset:60 ; 4-byte Folded Reload
	v_mul_lo_u32 v37, s75, v27
	v_sub_u32_e32 v6, v6, v37
	v_cmp_le_u32_e64 s[28:29], s75, v6
	v_addc_co_u32_e64 v6, s[28:29], 0, v27, s[28:29]
	v_sub_u32_e32 v27, 0, v6
	v_cmp_lt_i16_sdwa s[28:29], sext(v24), v34 src0_sel:BYTE_0 src1_sel:DWORD
	v_cndmask_b32_e32 v39, v6, v27, vcc
	s_and_b64 vcc, s[90:91], s[28:29]
	v_sub_u16_e32 v6, 0, v24
	v_cndmask_b32_e32 v6, v24, v6, vcc
	v_and_b32_e32 v6, 0xff, v6
	v_mul_hi_u32 v24, v6, s94
	v_mul_lo_u32 v27, s75, v24
	v_sub_u32_e32 v6, v6, v27
	v_cmp_le_u32_e64 s[28:29], s75, v6
	v_addc_co_u32_e64 v6, s[28:29], 0, v24, s[28:29]
	v_sub_u32_e32 v24, 0, v6
	v_cmp_lt_i16_sdwa s[28:29], sext(v25), v34 src0_sel:BYTE_0 src1_sel:DWORD
	v_cndmask_b32_e32 v6, v6, v24, vcc
	s_and_b64 vcc, s[90:91], s[28:29]
	v_sub_u16_e32 v24, 0, v25
	v_cndmask_b32_e32 v24, v25, v24, vcc
	v_and_b32_e32 v24, 0xff, v24
	v_mul_hi_u32 v25, v24, s94
	;; [unrolled: 12-line block ×9, first 2 shown]
	v_mul_lo_u32 v38, s75, v37
	v_sub_u32_e32 v3, v3, v38
	v_cmp_le_u32_e64 s[28:29], s75, v3
	v_addc_co_u32_e64 v3, s[28:29], 0, v37, s[28:29]
	v_sub_u32_e32 v37, 0, v3
	v_cndmask_b32_e32 v3, v3, v37, vcc
	flat_store_byte v[12:13], v0 glc slc
	flat_store_byte v[12:13], v1 offset:64 glc slc
	flat_store_byte v[12:13], v4 offset:128 glc slc
	;; [unrolled: 1-line block ×15, first 2 shown]
	flat_store_byte v[14:15], v0 glc slc
	flat_store_byte v[14:15], v1 offset:64 glc slc
	flat_store_byte v[14:15], v4 offset:128 glc slc
	;; [unrolled: 1-line block ×6, first 2 shown]
	buffer_load_dword v39, off, s[0:3], s33 offset:56 ; 4-byte Folded Reload
	s_waitcnt vmcnt(0)
	v_add_co_u32_e32 v8, vcc, v8, v51
	v_addc_co_u32_e32 v9, vcc, 0, v9, vcc
	v_add_co_u32_e32 v10, vcc, v10, v51
	v_addc_co_u32_e32 v11, vcc, 0, v11, vcc
	;; [unrolled: 2-line block ×3, first 2 shown]
	flat_store_byte v[14:15], v6 offset:448 glc slc
	flat_store_byte v[14:15], v24 offset:512 glc slc
	;; [unrolled: 1-line block ×9, first 2 shown]
	v_add_co_u32_e32 v14, vcc, v14, v51
	v_addc_co_u32_e32 v15, vcc, 0, v15, vcc
	v_sub_u32_e32 v46, v46, v39
	v_cmp_gt_i32_e32 vcc, 1, v46
	s_or_b64 s[92:93], vcc, s[92:93]
	s_andn2_b64 exec, exec, s[92:93]
	s_cbranch_execnz .LBB4_588
; %bb.589:                              ;   in Loop: Header=BB4_491 Depth=2
	s_or_b64 exec, exec, s[92:93]
	buffer_load_dword v16, off, s[0:3], s33 offset:92 ; 4-byte Folded Reload
	buffer_load_dword v17, off, s[0:3], s33 offset:96 ; 4-byte Folded Reload
	;; [unrolled: 1-line block ×25, first 2 shown]
	v_mov_b32_e32 v49, v2
	v_mov_b32_e32 v3, v7
.LBB4_590:                              ;   in Loop: Header=BB4_491 Depth=2
	s_or_b64 exec, exec, s[40:41]
	s_waitcnt vmcnt(0)
	v_lshlrev_b32_e32 v0, 10, v1
	v_cmp_ne_u32_e32 vcc, v44, v0
	s_and_b64 exec, exec, vcc
	s_cbranch_execz .LBB4_596
; %bb.591:                              ;   in Loop: Header=BB4_491 Depth=2
	v_lshlrev_b32_e32 v1, 6, v3
	v_sub_u32_e32 v1, v45, v1
	v_lshlrev_b32_e32 v3, 6, v46
	v_sub_u32_e32 v1, v1, v3
	v_add_u32_e32 v1, v0, v1
	v_sub_u32_e32 v0, v44, v1
	v_cmp_lt_i32_e32 vcc, 0, v0
	s_and_b64 exec, exec, vcc
	s_cbranch_execz .LBB4_596
; %bb.592:                              ;   in Loop: Header=BB4_491 Depth=2
	v_cvt_f32_u32_e32 v3, s75
	s_sub_i32 s8, 0, s75
	s_trap 2
	v_add_u32_e32 v1, v1, v55
	v_rcp_iflag_f32_e32 v3, v3
	v_ashrrev_i32_e32 v11, 31, v1
	s_mov_b64 s[92:93], 0
	v_mul_f32_e32 v3, 0x4f7ffffe, v3
	v_cvt_u32_f32_e32 v8, v3
	ds_read_b128 v[3:6], v0
	v_readfirstlane_b32 s28, v8
	s_mul_i32 s8, s8, s28
	s_mul_hi_u32 s8, s28, s8
	s_add_i32 s28, s28, s8
	s_mul_hi_u32 s8, s28, -1
	s_mul_i32 s28, s8, s75
	s_not_b32 s28, s28
	s_add_i32 s29, s8, 1
	s_sub_i32 s40, s28, s75
	s_cmp_ge_u32 s28, s75
	s_waitcnt lgkmcnt(0)
	v_add_co_u32_e32 v8, vcc, v3, v1
	s_cselect_b32 s8, s29, s8
	v_addc_co_u32_e32 v9, vcc, v4, v11, vcc
	s_cselect_b32 s28, s40, s28
	s_add_i32 s29, s8, 1
	v_add_co_u32_e32 v10, vcc, v5, v1
	s_cmp_ge_u32 s28, s75
	v_addc_co_u32_e32 v11, vcc, v6, v11, vcc
	s_cselect_b32 s34, s29, s8
	s_cmp_lt_i32 s48, 0
	v_mov_b32_e32 v13, v9
	v_mov_b32_e32 v15, v11
	s_cselect_b64 s[90:91], -1, 0
	v_mov_b32_e32 v12, v8
	v_mov_b32_e32 v14, v10
.LBB4_593:                              ;   Parent Loop BB4_47 Depth=1
                                        ;     Parent Loop BB4_491 Depth=2
                                        ; =>    This Loop Header: Depth=3
                                        ;         Child Loop BB4_594 Depth 4
	flat_load_ubyte v1, v[12:13] glc slc
	flat_load_ubyte v3, v[14:15] glc slc
	s_mov_b64 s[94:95], -1
	s_mov_b64 s[30:31], 0
	s_waitcnt vmcnt(0) lgkmcnt(0)
	v_add_u16_e32 v1, v3, v1
	v_cmp_lt_i16_sdwa s[28:29], sext(v1), v34 src0_sel:BYTE_0 src1_sel:DWORD
	s_and_b64 vcc, s[90:91], s[28:29]
	v_sub_u16_e32 v3, 0, v1
	v_cndmask_b32_e32 v1, v1, v3, vcc
	v_and_b32_e32 v1, 0xff, v1
	v_mul_hi_u32 v3, v1, s34
	v_mul_lo_u32 v4, s75, v3
	v_sub_u32_e32 v1, v1, v4
	v_cmp_le_u32_e64 s[28:29], s75, v1
	v_addc_co_u32_e64 v1, s[28:29], 0, v3, s[28:29]
	v_sub_u32_e32 v3, 0, v1
	v_cndmask_b32_e32 v1, v1, v3, vcc
.LBB4_594:                              ;   Parent Loop BB4_47 Depth=1
                                        ;     Parent Loop BB4_491 Depth=2
                                        ;       Parent Loop BB4_593 Depth=3
                                        ; =>      This Inner Loop Header: Depth=4
	s_cmp_eq_u32 s30, 1
	s_cselect_b64 vcc, -1, 0
	v_cndmask_b32_e32 v4, v9, v11, vcc
	v_cndmask_b32_e32 v3, v8, v10, vcc
	flat_store_byte v[3:4], v1 glc slc
	v_add_co_u32_e64 v3, s[28:29], 64, v3
	s_cmp_eq_u32 s30, 0
	v_addc_co_u32_e64 v4, s[28:29], 0, v4, s[28:29]
	s_cselect_b64 s[28:29], -1, 0
	s_and_b64 s[40:41], exec, s[94:95]
	s_mov_b64 s[30:31], 1
	s_mov_b64 s[94:95], 0
	v_cndmask_b32_e32 v11, v11, v4, vcc
	v_cndmask_b32_e32 v10, v10, v3, vcc
	v_cndmask_b32_e64 v9, v9, v4, s[28:29]
	v_cndmask_b32_e64 v8, v8, v3, s[28:29]
	s_mov_b64 vcc, s[40:41]
	s_cbranch_vccnz .LBB4_594
; %bb.595:                              ;   in Loop: Header=BB4_593 Depth=3
	buffer_load_dword v1, off, s[0:3], s33 offset:64 ; 4-byte Folded Reload
	v_add_co_u32_e32 v12, vcc, v12, v36
	v_sub_u32_e32 v0, v0, v31
	s_waitcnt vmcnt(0)
	v_addc_co_u32_e32 v13, vcc, v13, v1, vcc
	v_add_co_u32_e32 v14, vcc, v14, v36
	v_addc_co_u32_e32 v15, vcc, v15, v1, vcc
	v_add_co_u32_e32 v8, vcc, v8, v41
	v_addc_co_u32_e32 v9, vcc, v9, v40, vcc
	v_cmp_gt_i32_e32 vcc, 1, v0
	s_or_b64 s[92:93], vcc, s[92:93]
	v_add_co_u32_e32 v10, vcc, v10, v41
	v_addc_co_u32_e32 v11, vcc, v11, v40, vcc
	s_andn2_b64 exec, exec, s[92:93]
	s_cbranch_execnz .LBB4_593
.LBB4_596:                              ;   in Loop: Header=BB4_491 Depth=2
	s_or_b64 exec, exec, s[42:43]
	buffer_load_dword v46, off, s[0:3], s33 offset:132 ; 4-byte Folded Reload
	buffer_load_dword v47, off, s[0:3], s33 offset:136 ; 4-byte Folded Reload
	s_mov_b64 s[28:29], 0
	v_mov_b32_e32 v45, 1
.LBB4_597:                              ;   in Loop: Header=BB4_491 Depth=2
	s_and_b64 vcc, exec, s[28:29]
	s_cbranch_vccz .LBB4_615
; %bb.598:                              ;   in Loop: Header=BB4_491 Depth=2
	s_mov_b64 s[28:29], -1
	s_and_saveexec_b64 s[40:41], s[22:23]
	s_cbranch_execz .LBB4_600
; %bb.599:                              ;   in Loop: Header=BB4_491 Depth=2
	ds_read_b32 v0, v0 offset:720
	s_waitcnt lgkmcnt(0)
	v_and_b32_e32 v0, 15, v0
	v_cmp_eq_u32_e32 vcc, 0, v0
	s_orn2_b64 s[28:29], vcc, exec
.LBB4_600:                              ;   in Loop: Header=BB4_491 Depth=2
	s_or_b64 exec, exec, s[40:41]
	s_and_saveexec_b64 s[40:41], s[18:19]
	s_cbranch_execz .LBB4_602
; %bb.601:                              ;   in Loop: Header=BB4_491 Depth=2
	ds_read_b32 v0, v0 offset:784
	s_waitcnt lgkmcnt(0)
	v_and_b32_e32 v0, 15, v0
	v_cmp_eq_u32_e32 vcc, 0, v0
	s_and_b64 s[42:43], s[28:29], vcc
	s_andn2_b64 s[28:29], s[28:29], exec
	s_and_b64 s[42:43], s[42:43], exec
	s_or_b64 s[28:29], s[28:29], s[42:43]
.LBB4_602:                              ;   in Loop: Header=BB4_491 Depth=2
	s_or_b64 exec, exec, s[40:41]
	s_xor_b64 s[28:29], s[28:29], -1
	v_cndmask_b32_e64 v0, 0, 1, s[28:29]
	s_mov_b64 s[40:41], -1
	v_cmp_ne_u32_e32 vcc, 0, v0
	v_alignbit_b32 v0, v42, v42, 1
	s_cbranch_vccz .LBB4_616
; %bb.603:                              ;   in Loop: Header=BB4_491 Depth=2
	v_readfirstlane_b32 s8, v0
	v_readfirstlane_b32 s34, v0
	s_and_b32 s75, s8, 0x7fffffff
	s_mov_b64 s[42:43], -1
	v_mov_b32_e32 v14, 0
	s_cbranch_execnz .LBB4_617
.LBB4_604:                              ;   in Loop: Header=BB4_491 Depth=2
	v_readfirstlane_b32 s34, v0
	v_readfirstlane_b32 s8, v0
	buffer_load_dword v0, off, s[0:3], s33 offset:124 ; 4-byte Folded Reload
	v_ashrrev_i32_e32 v1, 31, v50
	v_lshrrev_b32_e32 v1, 21, v1
	v_add_u32_e32 v1, v50, v1
	v_ashrrev_i32_e32 v55, 11, v1
	s_and_b32 s75, s8, 0x7fffffff
	s_waitcnt vmcnt(0)
	v_sub_u32_e32 v53, v55, v0
	v_cmp_lt_i32_e32 vcc, 0, v53
	s_and_saveexec_b64 s[40:41], vcc
	s_cbranch_execz .LBB4_608
; %bb.605:                              ;   in Loop: Header=BB4_491 Depth=2
	buffer_load_dword v2, off, s[0:3], s33 offset:180 ; 4-byte Folded Reload
	v_cvt_f32_u32_e32 v0, s75
	s_sub_i32 s8, 0, s75
	v_mov_b32_e32 v7, v50
	s_mov_b64 s[92:93], 0
	v_rcp_iflag_f32_e32 v0, v0
	v_mul_f32_e32 v0, 0x4f7ffffe, v0
	v_cvt_u32_f32_e32 v3, v0
	v_readfirstlane_b32 s28, v3
	s_mul_i32 s8, s8, s28
	s_mul_hi_u32 s8, s28, s8
	s_add_i32 s28, s28, s8
	s_mul_hi_u32 s8, s28, -1
	s_mul_i32 s28, s8, s75
	s_not_b32 s28, s28
	s_add_i32 s29, s8, 1
	s_sub_i32 s90, s28, s75
	s_cmp_ge_u32 s28, s75
	s_cselect_b32 s8, s29, s8
	s_cselect_b32 s28, s90, s28
	s_add_i32 s29, s8, 1
	s_cmp_ge_u32 s28, s75
	s_cselect_b32 s94, s29, s8
	s_cmp_lt_i32 s34, 0
	s_cselect_b64 s[90:91], -1, 0
	s_waitcnt vmcnt(0)
	v_add_co_u32_e32 v42, vcc, v26, v2
	buffer_store_dword v26, off, s[0:3], s33 offset:200 ; 4-byte Folded Spill
	s_nop 0
	buffer_store_dword v27, off, s[0:3], s33 offset:204 ; 4-byte Folded Spill
	s_trap 2
	ds_read_b64 v[0:1], v0
	v_addc_co_u32_e32 v43, vcc, 0, v27, vcc
	s_waitcnt lgkmcnt(0)
	v_add_co_u32_e32 v44, vcc, v0, v2
	v_addc_co_u32_e32 v45, vcc, 0, v1, vcc
	v_add_co_u32_e32 v46, vcc, v24, v2
	buffer_store_dword v24, off, s[0:3], s33 offset:152 ; 4-byte Folded Spill
	s_nop 0
	buffer_store_dword v25, off, s[0:3], s33 offset:156 ; 4-byte Folded Spill
	v_addc_co_u32_e32 v47, vcc, 0, v25, vcc
.LBB4_606:                              ;   Parent Loop BB4_47 Depth=1
                                        ;     Parent Loop BB4_491 Depth=2
                                        ; =>    This Inner Loop Header: Depth=3
	global_load_dwordx4 v[3:6], v[42:43], off glc slc
	global_load_dwordx4 v[8:11], v[42:43], off offset:1024 glc slc
	global_load_dwordx4 v[24:27], v[44:45], off glc slc
	global_load_dwordx4 v[12:15], v[44:45], off offset:1024 glc slc
	s_waitcnt vmcnt(3)
	v_and_b32_e32 v0, 0xff00ff, v3
	s_waitcnt vmcnt(1)
	v_and_b32_e32 v1, 0xff00ff, v24
	v_add_u32_e32 v1, v1, v0
	v_and_b32_e32 v0, 0xff00ff00, v3
	v_and_b32_e32 v3, 0xff00ff00, v24
	v_add_u32_e32 v31, v3, v0
	v_and_b32_e32 v0, 0xff00ff, v4
	v_and_b32_e32 v3, 0xff00ff, v25
	v_add_u32_e32 v0, v3, v0
	v_and_b32_e32 v3, 0xff00ff00, v4
	v_and_b32_e32 v4, 0xff00ff00, v25
	v_add_u32_e32 v35, v4, v3
	v_and_b32_e32 v3, 0xff00ff, v5
	v_and_b32_e32 v4, 0xff00ff, v26
	v_add_u32_e32 v50, v4, v3
	v_and_b32_e32 v3, 0xff00ff00, v5
	v_and_b32_e32 v4, 0xff00ff00, v26
	v_add_u32_e32 v19, v4, v3
	v_and_b32_e32 v3, 0xff00ff, v6
	v_and_b32_e32 v4, 0xff00ff, v27
	v_add_u32_e32 v5, v4, v3
	v_and_b32_e32 v3, 0xff00ff00, v6
	v_and_b32_e32 v4, 0xff00ff00, v27
	v_add_u32_e32 v38, v4, v3
	v_and_b32_e32 v3, 0xff00ff, v8
	s_waitcnt vmcnt(0)
	v_and_b32_e32 v4, 0xff00ff, v12
	v_add_u32_e32 v58, v4, v3
	v_and_b32_e32 v3, 0xff00ff00, v8
	v_and_b32_e32 v4, 0xff00ff00, v12
	v_add_u32_e32 v4, v4, v3
	v_and_b32_e32 v3, 0xff00ff, v9
	;; [unrolled: 3-line block ×7, first 2 shown]
	v_and_b32_e32 v6, 0xff00ff00, v15
	v_cmp_lt_i16_sdwa s[28:29], sext(v1), v34 src0_sel:BYTE_0 src1_sel:DWORD
	v_add_u32_e32 v3, v6, v3
	s_and_b64 vcc, s[90:91], s[28:29]
	v_sub_u16_e32 v6, 0, v1
	v_cndmask_b32_e32 v6, v1, v6, vcc
	v_and_b32_e32 v6, 0xff, v6
	v_mul_hi_u32 v8, v6, s94
	v_perm_b32 v36, v31, v1, s64
	v_lshrrev_b32_e32 v1, 16, v1
	v_perm_b32 v52, v35, v0, s64
	v_mul_lo_u32 v9, s75, v8
	v_perm_b32 v30, v19, v50, s64
	v_perm_b32 v39, v38, v5, s64
	;; [unrolled: 1-line block ×3, first 2 shown]
	v_sub_u32_e32 v6, v6, v9
	v_cmp_le_u32_e64 s[28:29], s75, v6
	v_addc_co_u32_e64 v6, s[28:29], 0, v8, s[28:29]
	v_sub_u32_e32 v8, 0, v6
	v_and_b32_e32 v9, 0x8000, v36
	v_cndmask_b32_e32 v8, v6, v8, vcc
	v_lshrrev_b32_e32 v6, 8, v31
	v_cmp_ne_u32_e32 vcc, 0, v9
	s_and_b64 vcc, s[90:91], vcc
	v_sub_u16_e32 v9, 0, v6
	v_cndmask_b32_e32 v6, v6, v9, vcc
	v_and_b32_e32 v6, 0xff, v6
	v_mul_hi_u32 v9, v6, s94
	v_perm_b32 v57, v13, v51, s64
	v_perm_b32 v41, v14, v56, s64
	;; [unrolled: 1-line block ×3, first 2 shown]
	v_mul_lo_u32 v10, s75, v9
	v_sub_u32_e32 v6, v6, v10
	v_cmp_le_u32_e64 s[28:29], s75, v6
	v_addc_co_u32_e64 v6, s[28:29], 0, v9, s[28:29]
	v_sub_u32_e32 v9, 0, v6
	v_cmp_lt_i16_sdwa s[28:29], sext(v1), v34 src0_sel:BYTE_0 src1_sel:DWORD
	v_cndmask_b32_e32 v6, v6, v9, vcc
	s_and_b64 vcc, s[90:91], s[28:29]
	v_sub_u16_e32 v9, 0, v1
	v_cndmask_b32_e32 v1, v1, v9, vcc
	v_and_b32_e32 v1, 0xff, v1
	v_mul_hi_u32 v9, v1, s94
	v_lshlrev_b32_e32 v6, 8, v6
	v_perm_b32 v6, v6, v8, s87
	v_mul_lo_u32 v10, s75, v9
	v_sub_u32_e32 v1, v1, v10
	v_cmp_le_u32_e64 s[28:29], s75, v1
	v_addc_co_u32_e64 v1, s[28:29], 0, v9, s[28:29]
	v_sub_u32_e32 v9, 0, v1
	v_cndmask_b32_e32 v1, v1, v9, vcc
	v_lshrrev_b32_e32 v9, 24, v31
	v_and_b32_e32 v10, s34, v36
	v_cmp_lt_i32_e32 vcc, -1, v10
	v_sub_u16_e32 v10, 0, v9
	v_cndmask_b32_e32 v9, v10, v9, vcc
	v_and_b32_e32 v9, 0xff, v9
	v_mul_hi_u32 v10, v9, s94
	v_and_b32_e32 v1, 0xff, v1
	v_lshlrev_b32_e32 v1, 16, v1
	v_mul_lo_u32 v11, s75, v10
	v_sub_u32_e32 v9, v9, v11
	v_cmp_le_u32_e64 s[28:29], s75, v9
	v_addc_co_u32_e64 v9, s[28:29], 0, v10, s[28:29]
	v_sub_u32_e32 v10, 0, v9
	v_cndmask_b32_e32 v9, v10, v9, vcc
	v_lshlrev_b32_e32 v9, 24, v9
	v_cmp_lt_i16_sdwa s[28:29], sext(v0), v34 src0_sel:BYTE_0 src1_sel:DWORD
	v_or3_b32 v8, v9, v1, v6
	s_and_b64 vcc, s[90:91], s[28:29]
	v_sub_u16_e32 v1, 0, v0
	v_cndmask_b32_e32 v1, v0, v1, vcc
	v_and_b32_e32 v1, 0xff, v1
	v_mul_hi_u32 v6, v1, s94
	v_lshrrev_b32_e32 v0, 16, v0
	v_mul_lo_u32 v9, s75, v6
	v_sub_u32_e32 v1, v1, v9
	v_cmp_le_u32_e64 s[28:29], s75, v1
	v_addc_co_u32_e64 v1, s[28:29], 0, v6, s[28:29]
	v_sub_u32_e32 v6, 0, v1
	v_and_b32_e32 v9, 0x8000, v52
	v_cndmask_b32_e32 v1, v1, v6, vcc
	v_lshrrev_b32_e32 v6, 8, v35
	v_cmp_ne_u32_e32 vcc, 0, v9
	s_and_b64 vcc, s[90:91], vcc
	v_sub_u16_e32 v9, 0, v6
	v_cndmask_b32_e32 v6, v6, v9, vcc
	v_and_b32_e32 v6, 0xff, v6
	v_mul_hi_u32 v9, v6, s94
	v_mul_lo_u32 v10, s75, v9
	v_sub_u32_e32 v6, v6, v10
	v_cmp_le_u32_e64 s[28:29], s75, v6
	v_addc_co_u32_e64 v6, s[28:29], 0, v9, s[28:29]
	v_sub_u32_e32 v9, 0, v6
	v_cmp_lt_i16_sdwa s[28:29], sext(v0), v34 src0_sel:BYTE_0 src1_sel:DWORD
	v_cndmask_b32_e32 v6, v6, v9, vcc
	s_and_b64 vcc, s[90:91], s[28:29]
	v_sub_u16_e32 v9, 0, v0
	v_cndmask_b32_e32 v0, v0, v9, vcc
	v_and_b32_e32 v0, 0xff, v0
	v_mul_hi_u32 v9, v0, s94
	v_lshlrev_b32_e32 v6, 8, v6
	v_perm_b32 v1, v6, v1, s87
	v_mul_lo_u32 v10, s75, v9
	v_sub_u32_e32 v0, v0, v10
	v_cmp_le_u32_e64 s[28:29], s75, v0
	v_addc_co_u32_e64 v0, s[28:29], 0, v9, s[28:29]
	v_sub_u32_e32 v9, 0, v0
	v_cndmask_b32_e32 v0, v0, v9, vcc
	v_lshrrev_b32_e32 v9, 24, v35
	v_and_b32_e32 v10, s34, v52
	v_cmp_lt_i32_e32 vcc, -1, v10
	v_sub_u16_e32 v10, 0, v9
	v_cndmask_b32_e32 v9, v10, v9, vcc
	v_and_b32_e32 v9, 0xff, v9
	v_mul_hi_u32 v10, v9, s94
	v_and_b32_e32 v0, 0xff, v0
	v_lshlrev_b32_e32 v0, 16, v0
	v_mul_lo_u32 v11, s75, v10
	v_sub_u32_e32 v9, v9, v11
	v_cmp_le_u32_e64 s[28:29], s75, v9
	v_addc_co_u32_e64 v9, s[28:29], 0, v10, s[28:29]
	v_sub_u32_e32 v10, 0, v9
	v_cndmask_b32_e32 v9, v10, v9, vcc
	v_lshlrev_b32_e32 v9, 24, v9
	v_cmp_lt_i16_sdwa s[28:29], sext(v50), v34 src0_sel:BYTE_0 src1_sel:DWORD
	v_or3_b32 v9, v9, v0, v1
	s_and_b64 vcc, s[90:91], s[28:29]
	v_sub_u16_e32 v0, 0, v50
	v_cndmask_b32_e32 v0, v50, v0, vcc
	v_and_b32_e32 v0, 0xff, v0
	v_mul_hi_u32 v1, v0, s94
	v_mul_lo_u32 v6, s75, v1
	v_sub_u32_e32 v0, v0, v6
	v_cmp_le_u32_e64 s[28:29], s75, v0
	v_addc_co_u32_e64 v0, s[28:29], 0, v1, s[28:29]
	v_sub_u32_e32 v1, 0, v0
	v_and_b32_e32 v6, 0x8000, v30
	v_cndmask_b32_e32 v0, v0, v1, vcc
	v_lshrrev_b32_e32 v1, 8, v19
	v_cmp_ne_u32_e32 vcc, 0, v6
	s_and_b64 vcc, s[90:91], vcc
	v_sub_u16_e32 v6, 0, v1
	v_cndmask_b32_e32 v1, v1, v6, vcc
	v_and_b32_e32 v1, 0xff, v1
	v_mul_hi_u32 v6, v1, s94
	v_mul_lo_u32 v10, s75, v6
	v_sub_u32_e32 v1, v1, v10
	v_cmp_le_u32_e64 s[28:29], s75, v1
	v_addc_co_u32_e64 v1, s[28:29], 0, v6, s[28:29]
	v_sub_u32_e32 v6, 0, v1
	v_cndmask_b32_e32 v1, v1, v6, vcc
	v_lshrrev_b32_e32 v6, 16, v50
	v_cmp_lt_i16_sdwa s[28:29], sext(v6), v34 src0_sel:BYTE_0 src1_sel:DWORD
	s_and_b64 vcc, s[90:91], s[28:29]
	v_sub_u16_e32 v10, 0, v6
	v_cndmask_b32_e32 v6, v6, v10, vcc
	v_and_b32_e32 v6, 0xff, v6
	v_mul_hi_u32 v10, v6, s94
	v_lshlrev_b32_e32 v1, 8, v1
	v_perm_b32 v0, v1, v0, s87
	v_mul_lo_u32 v11, s75, v10
	v_sub_u32_e32 v6, v6, v11
	v_cmp_le_u32_e64 s[28:29], s75, v6
	v_addc_co_u32_e64 v6, s[28:29], 0, v10, s[28:29]
	v_sub_u32_e32 v10, 0, v6
	v_cndmask_b32_e32 v6, v6, v10, vcc
	v_lshrrev_b32_e32 v10, 24, v19
	v_and_b32_e32 v11, s34, v30
	v_cmp_lt_i32_e32 vcc, -1, v11
	v_sub_u16_e32 v11, 0, v10
	v_cndmask_b32_e32 v10, v11, v10, vcc
	v_and_b32_e32 v10, 0xff, v10
	v_mul_hi_u32 v11, v10, s94
	v_and_b32_e32 v6, 0xff, v6
	v_lshlrev_b32_e32 v6, 16, v6
	buffer_load_dword v30, off, s[0:3], s33 offset:68 ; 4-byte Folded Reload
	v_mul_lo_u32 v19, s75, v11
	v_sub_u32_e32 v10, v10, v19
	v_cmp_le_u32_e64 s[28:29], s75, v10
	v_addc_co_u32_e64 v10, s[28:29], 0, v11, s[28:29]
	v_sub_u32_e32 v11, 0, v10
	v_cndmask_b32_e32 v10, v11, v10, vcc
	v_lshlrev_b32_e32 v10, 24, v10
	v_cmp_lt_i16_sdwa s[28:29], sext(v5), v34 src0_sel:BYTE_0 src1_sel:DWORD
	v_or3_b32 v10, v10, v6, v0
	s_and_b64 vcc, s[90:91], s[28:29]
	v_sub_u16_e32 v0, 0, v5
	v_cndmask_b32_e32 v0, v5, v0, vcc
	v_and_b32_e32 v0, 0xff, v0
	v_mul_hi_u32 v1, v0, s94
	v_lshrrev_b32_e32 v5, 16, v5
	v_mul_lo_u32 v6, s75, v1
	v_sub_u32_e32 v0, v0, v6
	v_cmp_le_u32_e64 s[28:29], s75, v0
	v_addc_co_u32_e64 v0, s[28:29], 0, v1, s[28:29]
	v_sub_u32_e32 v1, 0, v0
	v_and_b32_e32 v6, 0x8000, v39
	v_cndmask_b32_e32 v0, v0, v1, vcc
	v_lshrrev_b32_e32 v1, 8, v38
	v_cmp_ne_u32_e32 vcc, 0, v6
	s_and_b64 vcc, s[90:91], vcc
	v_sub_u16_e32 v6, 0, v1
	v_cndmask_b32_e32 v1, v1, v6, vcc
	v_and_b32_e32 v1, 0xff, v1
	v_mul_hi_u32 v6, v1, s94
	v_mul_lo_u32 v11, s75, v6
	v_sub_u32_e32 v1, v1, v11
	v_cmp_le_u32_e64 s[28:29], s75, v1
	v_addc_co_u32_e64 v1, s[28:29], 0, v6, s[28:29]
	v_sub_u32_e32 v6, 0, v1
	v_cmp_lt_i16_sdwa s[28:29], sext(v5), v34 src0_sel:BYTE_0 src1_sel:DWORD
	v_cndmask_b32_e32 v1, v1, v6, vcc
	s_and_b64 vcc, s[90:91], s[28:29]
	v_sub_u16_e32 v6, 0, v5
	v_cndmask_b32_e32 v5, v5, v6, vcc
	v_and_b32_e32 v5, 0xff, v5
	v_mul_hi_u32 v6, v5, s94
	v_lshlrev_b32_e32 v1, 8, v1
	v_perm_b32 v0, v1, v0, s87
	v_mul_lo_u32 v11, s75, v6
	v_sub_u32_e32 v5, v5, v11
	v_cmp_le_u32_e64 s[28:29], s75, v5
	v_addc_co_u32_e64 v5, s[28:29], 0, v6, s[28:29]
	v_sub_u32_e32 v6, 0, v5
	v_cndmask_b32_e32 v5, v5, v6, vcc
	v_lshrrev_b32_e32 v6, 24, v38
	v_and_b32_e32 v11, s34, v39
	v_cmp_lt_i32_e32 vcc, -1, v11
	v_sub_u16_e32 v11, 0, v6
	v_cndmask_b32_e32 v6, v11, v6, vcc
	v_and_b32_e32 v6, 0xff, v6
	v_mul_hi_u32 v11, v6, s94
	v_and_b32_e32 v5, 0xff, v5
	v_lshlrev_b32_e32 v5, 16, v5
	buffer_load_dword v39, off, s[0:3], s33 offset:56 ; 4-byte Folded Reload
	v_mul_lo_u32 v19, s75, v11
	v_sub_u32_e32 v6, v6, v19
	v_cmp_le_u32_e64 s[28:29], s75, v6
	v_addc_co_u32_e64 v6, s[28:29], 0, v11, s[28:29]
	v_sub_u32_e32 v11, 0, v6
	v_cndmask_b32_e32 v6, v11, v6, vcc
	v_lshlrev_b32_e32 v6, 24, v6
	v_cmp_lt_i16_sdwa s[28:29], sext(v58), v34 src0_sel:BYTE_0 src1_sel:DWORD
	v_or3_b32 v11, v6, v5, v0
	s_and_b64 vcc, s[90:91], s[28:29]
	v_sub_u16_e32 v0, 0, v58
	v_cndmask_b32_e32 v0, v58, v0, vcc
	v_and_b32_e32 v0, 0xff, v0
	v_mul_hi_u32 v1, v0, s94
	v_mul_lo_u32 v5, s75, v1
	v_sub_u32_e32 v0, v0, v5
	v_cmp_le_u32_e64 s[28:29], s75, v0
	v_addc_co_u32_e64 v0, s[28:29], 0, v1, s[28:29]
	v_sub_u32_e32 v1, 0, v0
	v_and_b32_e32 v5, 0x8000, v12
	v_cndmask_b32_e32 v0, v0, v1, vcc
	v_lshrrev_b32_e32 v1, 8, v4
	v_cmp_ne_u32_e32 vcc, 0, v5
	s_and_b64 vcc, s[90:91], vcc
	v_sub_u16_e32 v5, 0, v1
	v_cndmask_b32_e32 v1, v1, v5, vcc
	v_and_b32_e32 v1, 0xff, v1
	v_mul_hi_u32 v5, v1, s94
	v_lshrrev_b32_e32 v4, 24, v4
	v_mul_lo_u32 v6, s75, v5
	v_sub_u32_e32 v1, v1, v6
	v_cmp_le_u32_e64 s[28:29], s75, v1
	v_addc_co_u32_e64 v1, s[28:29], 0, v5, s[28:29]
	v_sub_u32_e32 v5, 0, v1
	v_cndmask_b32_e32 v1, v1, v5, vcc
	v_lshrrev_b32_e32 v5, 16, v58
	v_cmp_lt_i16_sdwa s[28:29], sext(v5), v34 src0_sel:BYTE_0 src1_sel:DWORD
	s_and_b64 vcc, s[90:91], s[28:29]
	v_sub_u16_e32 v6, 0, v5
	v_cndmask_b32_e32 v5, v5, v6, vcc
	v_and_b32_e32 v5, 0xff, v5
	v_mul_hi_u32 v6, v5, s94
	v_lshlrev_b32_e32 v1, 8, v1
	v_perm_b32 v0, v1, v0, s87
	v_mul_lo_u32 v19, s75, v6
	v_sub_u32_e32 v5, v5, v19
	v_cmp_le_u32_e64 s[28:29], s75, v5
	v_addc_co_u32_e64 v5, s[28:29], 0, v6, s[28:29]
	v_sub_u32_e32 v6, 0, v5
	v_cndmask_b32_e32 v5, v5, v6, vcc
	v_and_b32_e32 v6, s34, v12
	v_cmp_lt_i32_e32 vcc, -1, v6
	v_sub_u16_e32 v6, 0, v4
	v_cndmask_b32_e32 v4, v6, v4, vcc
	v_and_b32_e32 v4, 0xff, v4
	v_mul_hi_u32 v6, v4, s94
	v_and_b32_e32 v5, 0xff, v5
	v_lshlrev_b32_e32 v5, 16, v5
	s_waitcnt vmcnt(0)
	v_sub_u32_e32 v53, v53, v39
	v_mul_lo_u32 v12, s75, v6
	v_sub_u32_e32 v4, v4, v12
	v_cmp_le_u32_e64 s[28:29], s75, v4
	v_addc_co_u32_e64 v4, s[28:29], 0, v6, s[28:29]
	v_sub_u32_e32 v6, 0, v4
	v_cndmask_b32_e32 v4, v6, v4, vcc
	v_lshlrev_b32_e32 v4, 24, v4
	v_cmp_lt_i16_sdwa s[28:29], sext(v51), v34 src0_sel:BYTE_0 src1_sel:DWORD
	v_or3_b32 v12, v4, v5, v0
	s_and_b64 vcc, s[90:91], s[28:29]
	v_sub_u16_e32 v0, 0, v51
	v_cndmask_b32_e32 v0, v51, v0, vcc
	v_and_b32_e32 v0, 0xff, v0
	v_mul_hi_u32 v1, v0, s94
	v_mul_lo_u32 v4, s75, v1
	v_sub_u32_e32 v0, v0, v4
	v_cmp_le_u32_e64 s[28:29], s75, v0
	v_addc_co_u32_e64 v0, s[28:29], 0, v1, s[28:29]
	v_sub_u32_e32 v1, 0, v0
	v_and_b32_e32 v4, 0x8000, v57
	v_cndmask_b32_e32 v0, v0, v1, vcc
	v_lshrrev_b32_e32 v1, 8, v13
	v_cmp_ne_u32_e32 vcc, 0, v4
	s_and_b64 vcc, s[90:91], vcc
	v_sub_u16_e32 v4, 0, v1
	v_cndmask_b32_e32 v1, v1, v4, vcc
	v_and_b32_e32 v1, 0xff, v1
	v_mul_hi_u32 v4, v1, s94
	v_mul_lo_u32 v5, s75, v4
	v_sub_u32_e32 v1, v1, v5
	v_cmp_le_u32_e64 s[28:29], s75, v1
	v_addc_co_u32_e64 v1, s[28:29], 0, v4, s[28:29]
	v_sub_u32_e32 v4, 0, v1
	v_cndmask_b32_e32 v1, v1, v4, vcc
	v_lshrrev_b32_e32 v4, 16, v51
	v_cmp_lt_i16_sdwa s[28:29], sext(v4), v34 src0_sel:BYTE_0 src1_sel:DWORD
	s_and_b64 vcc, s[90:91], s[28:29]
	v_sub_u16_e32 v5, 0, v4
	v_cndmask_b32_e32 v4, v4, v5, vcc
	v_and_b32_e32 v4, 0xff, v4
	v_mul_hi_u32 v5, v4, s94
	v_lshlrev_b32_e32 v1, 8, v1
	v_perm_b32 v0, v1, v0, s87
	v_mul_lo_u32 v6, s75, v5
	v_sub_u32_e32 v4, v4, v6
	v_cmp_le_u32_e64 s[28:29], s75, v4
	v_addc_co_u32_e64 v4, s[28:29], 0, v5, s[28:29]
	v_sub_u32_e32 v5, 0, v4
	v_cndmask_b32_e32 v4, v4, v5, vcc
	v_lshrrev_b32_e32 v5, 24, v13
	v_and_b32_e32 v6, s34, v57
	v_cmp_lt_i32_e32 vcc, -1, v6
	v_sub_u16_e32 v6, 0, v5
	v_cndmask_b32_e32 v5, v6, v5, vcc
	v_and_b32_e32 v5, 0xff, v5
	v_mul_hi_u32 v6, v5, s94
	v_and_b32_e32 v4, 0xff, v4
	v_lshlrev_b32_e32 v4, 16, v4
	v_mul_lo_u32 v13, s75, v6
	v_sub_u32_e32 v5, v5, v13
	v_cmp_le_u32_e64 s[28:29], s75, v5
	v_addc_co_u32_e64 v5, s[28:29], 0, v6, s[28:29]
	v_sub_u32_e32 v6, 0, v5
	v_cndmask_b32_e32 v5, v6, v5, vcc
	v_lshlrev_b32_e32 v5, 24, v5
	v_cmp_lt_i16_sdwa s[28:29], sext(v56), v34 src0_sel:BYTE_0 src1_sel:DWORD
	v_or3_b32 v13, v5, v4, v0
	s_and_b64 vcc, s[90:91], s[28:29]
	v_sub_u16_e32 v0, 0, v56
	v_cndmask_b32_e32 v0, v56, v0, vcc
	v_and_b32_e32 v0, 0xff, v0
	v_mul_hi_u32 v1, v0, s94
	v_mul_lo_u32 v4, s75, v1
	v_sub_u32_e32 v0, v0, v4
	v_cmp_le_u32_e64 s[28:29], s75, v0
	v_addc_co_u32_e64 v0, s[28:29], 0, v1, s[28:29]
	v_sub_u32_e32 v1, 0, v0
	v_and_b32_e32 v4, 0x8000, v41
	v_cndmask_b32_e32 v0, v0, v1, vcc
	v_lshrrev_b32_e32 v1, 8, v14
	v_cmp_ne_u32_e32 vcc, 0, v4
	s_and_b64 vcc, s[90:91], vcc
	v_sub_u16_e32 v4, 0, v1
	v_cndmask_b32_e32 v1, v1, v4, vcc
	v_and_b32_e32 v1, 0xff, v1
	v_mul_hi_u32 v4, v1, s94
	v_mul_lo_u32 v5, s75, v4
	v_sub_u32_e32 v1, v1, v5
	v_cmp_le_u32_e64 s[28:29], s75, v1
	v_addc_co_u32_e64 v1, s[28:29], 0, v4, s[28:29]
	v_sub_u32_e32 v4, 0, v1
	v_cndmask_b32_e32 v1, v1, v4, vcc
	v_lshrrev_b32_e32 v4, 16, v56
	v_cmp_lt_i16_sdwa s[28:29], sext(v4), v34 src0_sel:BYTE_0 src1_sel:DWORD
	s_and_b64 vcc, s[90:91], s[28:29]
	v_sub_u16_e32 v5, 0, v4
	v_cndmask_b32_e32 v4, v4, v5, vcc
	v_and_b32_e32 v4, 0xff, v4
	v_mul_hi_u32 v5, v4, s94
	v_lshlrev_b32_e32 v1, 8, v1
	v_perm_b32 v0, v1, v0, s87
	v_mul_lo_u32 v6, s75, v5
	v_sub_u32_e32 v4, v4, v6
	v_cmp_le_u32_e64 s[28:29], s75, v4
	v_addc_co_u32_e64 v4, s[28:29], 0, v5, s[28:29]
	v_sub_u32_e32 v5, 0, v4
	v_cndmask_b32_e32 v4, v4, v5, vcc
	v_lshrrev_b32_e32 v5, 24, v14
	v_and_b32_e32 v6, s34, v41
	v_cmp_lt_i32_e32 vcc, -1, v6
	v_sub_u16_e32 v6, 0, v5
	v_cndmask_b32_e32 v5, v6, v5, vcc
	v_and_b32_e32 v5, 0xff, v5
	v_mul_hi_u32 v6, v5, s94
	v_and_b32_e32 v4, 0xff, v4
	v_lshlrev_b32_e32 v4, 16, v4
	v_mul_lo_u32 v14, s75, v6
	v_sub_u32_e32 v5, v5, v14
	v_cmp_le_u32_e64 s[28:29], s75, v5
	v_addc_co_u32_e64 v5, s[28:29], 0, v6, s[28:29]
	v_sub_u32_e32 v6, 0, v5
	v_cndmask_b32_e32 v5, v6, v5, vcc
	v_lshlrev_b32_e32 v5, 24, v5
	v_cmp_lt_i16_sdwa s[28:29], sext(v40), v34 src0_sel:BYTE_0 src1_sel:DWORD
	v_or3_b32 v14, v5, v4, v0
	s_and_b64 vcc, s[90:91], s[28:29]
	v_sub_u16_e32 v0, 0, v40
	v_cndmask_b32_e32 v0, v40, v0, vcc
	v_and_b32_e32 v0, 0xff, v0
	v_mul_hi_u32 v1, v0, s94
	v_mul_lo_u32 v4, s75, v1
	v_sub_u32_e32 v0, v0, v4
	v_cmp_le_u32_e64 s[28:29], s75, v0
	v_addc_co_u32_e64 v0, s[28:29], 0, v1, s[28:29]
	v_sub_u32_e32 v1, 0, v0
	v_cndmask_b32_e32 v4, v0, v1, vcc
	v_and_b32_e32 v1, 0x8000, v15
	v_lshrrev_b32_e32 v0, 8, v3
	v_cmp_ne_u32_e32 vcc, 0, v1
	s_and_b64 vcc, s[90:91], vcc
	v_sub_u16_e32 v1, 0, v0
	v_cndmask_b32_e32 v0, v0, v1, vcc
	v_and_b32_e32 v0, 0xff, v0
	v_mul_hi_u32 v1, v0, s94
	v_mul_lo_u32 v5, s75, v1
	v_sub_u32_e32 v0, v0, v5
	v_cmp_le_u32_e64 s[28:29], s75, v0
	v_addc_co_u32_e64 v0, s[28:29], 0, v1, s[28:29]
	v_sub_u32_e32 v1, 0, v0
	v_cndmask_b32_e32 v0, v0, v1, vcc
	v_lshlrev_b32_e32 v5, 8, v0
	v_lshrrev_b32_e32 v0, 16, v40
	v_cmp_lt_i16_sdwa s[28:29], sext(v0), v34 src0_sel:BYTE_0 src1_sel:DWORD
	s_and_b64 vcc, s[90:91], s[28:29]
	v_sub_u16_e32 v1, 0, v0
	v_cndmask_b32_e32 v0, v0, v1, vcc
	v_and_b32_e32 v0, 0xff, v0
	v_mul_hi_u32 v1, v0, s94
	v_mul_lo_u32 v6, s75, v1
	v_sub_u32_e32 v0, v0, v6
	v_cmp_le_u32_e64 s[28:29], s75, v0
	v_addc_co_u32_e64 v0, s[28:29], 0, v1, s[28:29]
	v_sub_u32_e32 v1, 0, v0
	v_cndmask_b32_e32 v0, v0, v1, vcc
	v_and_b32_e32 v19, 0xff, v0
	v_lshrrev_b32_e32 v0, 24, v3
	v_and_b32_e32 v1, s34, v15
	v_cmp_lt_i32_e32 vcc, -1, v1
	v_sub_u16_e32 v1, 0, v0
	v_cndmask_b32_e32 v0, v1, v0, vcc
	v_and_b32_e32 v0, 0xff, v0
	v_mul_hi_u32 v1, v0, s94
	v_mul_lo_u32 v3, s75, v1
	v_sub_u32_e32 v0, v0, v3
	v_cmp_le_u32_e64 s[28:29], s75, v0
	v_addc_co_u32_e64 v0, s[28:29], 0, v1, s[28:29]
	v_sub_u32_e32 v1, 0, v0
	v_cndmask_b32_e32 v0, v1, v0, vcc
	v_add_co_u32_e32 v42, vcc, v42, v30
	v_addc_co_u32_e32 v43, vcc, 0, v43, vcc
	v_add_co_u32_e32 v44, vcc, v44, v30
	v_lshlrev_b32_e32 v1, 16, v19
	v_lshlrev_b32_e32 v0, 24, v0
	v_perm_b32 v3, v5, v4, s87
	v_addc_co_u32_e32 v45, vcc, 0, v45, vcc
	v_or3_b32 v15, v0, v1, v3
	global_store_dwordx4 v[46:47], v[8:11], off glc slc
	global_store_dwordx4 v[46:47], v[12:15], off offset:1024 glc slc
	v_add_co_u32_e32 v46, vcc, v46, v30
	v_addc_co_u32_e32 v47, vcc, 0, v47, vcc
	v_cmp_gt_i32_e32 vcc, 1, v53
	s_or_b64 s[92:93], vcc, s[92:93]
	s_andn2_b64 exec, exec, s[92:93]
	s_cbranch_execnz .LBB4_606
; %bb.607:                              ;   in Loop: Header=BB4_491 Depth=2
	s_or_b64 exec, exec, s[92:93]
	buffer_load_dword v16, off, s[0:3], s33 offset:92 ; 4-byte Folded Reload
	buffer_load_dword v17, off, s[0:3], s33 offset:96 ; 4-byte Folded Reload
	buffer_load_dword v18, off, s[0:3], s33 offset:100 ; 4-byte Folded Reload
	buffer_load_dword v19, off, s[0:3], s33 offset:104 ; 4-byte Folded Reload
	buffer_load_dword v56, off, s[0:3], s33 offset:140 ; 4-byte Folded Reload
	buffer_load_dword v57, off, s[0:3], s33 offset:144 ; 4-byte Folded Reload
	buffer_load_dword v46, off, s[0:3], s33 offset:132 ; 4-byte Folded Reload
	buffer_load_dword v47, off, s[0:3], s33 offset:136 ; 4-byte Folded Reload
	buffer_load_dword v58, off, s[0:3], s33 offset:184 ; 4-byte Folded Reload
	buffer_load_dword v31, off, s[0:3], s33 offset:128 ; 4-byte Folded Reload
	buffer_load_dword v51, off, s[0:3], s33 offset:60 ; 4-byte Folded Reload
	buffer_load_dword v41, off, s[0:3], s33 offset:120 ; 4-byte Folded Reload
	buffer_load_dword v40, off, s[0:3], s33 offset:112 ; 4-byte Folded Reload
	buffer_load_dword v36, off, s[0:3], s33 offset:108 ; 4-byte Folded Reload
	buffer_load_dword v52, off, s[0:3], s33 offset:212 ; 4-byte Folded Reload
	buffer_load_dword v18, off, s[0:3], s33 offset:208 ; 4-byte Folded Reload
	buffer_load_dword v24, off, s[0:3], s33 offset:152 ; 4-byte Folded Reload
	buffer_load_dword v25, off, s[0:3], s33 offset:156 ; 4-byte Folded Reload
	buffer_load_dword v26, off, s[0:3], s33 offset:200 ; 4-byte Folded Reload
	buffer_load_dword v27, off, s[0:3], s33 offset:204 ; 4-byte Folded Reload
	v_mov_b32_e32 v45, 1
	v_mov_b32_e32 v50, v7
.LBB4_608:                              ;   in Loop: Header=BB4_491 Depth=2
	s_or_b64 exec, exec, s[40:41]
	v_lshlrev_b32_e32 v55, 11, v55
	v_cmp_ne_u32_e32 vcc, v50, v55
                                        ; implicit-def: $vgpr15
                                        ; implicit-def: $vgpr14
                                        ; implicit-def: $vgpr42
	s_and_saveexec_b64 s[90:91], vcc
	s_cbranch_execz .LBB4_614
; %bb.609:                              ;   in Loop: Header=BB4_491 Depth=2
	buffer_load_dword v2, off, s[0:3], s33 offset:160 ; 4-byte Folded Reload
	v_lshlrev_b32_e32 v0, 6, v53
	v_sub_u32_e32 v1, v50, v55
	s_waitcnt vmcnt(0)
	v_sub_u32_e32 v0, v2, v0
	v_ashrrev_i32_e32 v3, 31, v0
	v_lshrrev_b32_e32 v3, 26, v3
	v_add_u32_e32 v3, v0, v3
	v_ashrrev_i32_e32 v4, 6, v3
	v_and_b32_e32 v3, 0xffffffc0, v3
	v_sub_u32_e32 v53, v0, v3
	v_ashrrev_i32_e32 v3, 31, v1
	v_lshrrev_b32_e32 v3, 22, v3
	v_add_u32_e32 v3, v1, v3
	v_and_b32_e32 v44, 0xfffffc00, v3
	v_lshlrev_b32_e32 v0, 4, v53
	v_sub_u32_e32 v45, v1, v44
	v_lshl_add_u32 v0, v4, 10, v0
	v_ashrrev_i32_e32 v5, 10, v3
	v_cmp_lt_i32_e32 vcc, 15, v45
	v_sub_u32_e32 v47, v1, v0
	v_addc_co_u32_e64 v1, s[28:29], 0, v5, vcc
	v_sub_u32_e32 v46, v1, v4
	v_cmp_lt_i32_e64 s[28:29], 15, v47
	s_and_saveexec_b64 s[92:93], s[28:29]
	s_cbranch_execz .LBB4_613
; %bb.610:                              ;   in Loop: Header=BB4_491 Depth=2
	v_cvt_f32_u32_e32 v1, s75
	v_add_u32_e32 v3, v0, v55
	s_sub_i32 s8, 0, s75
	s_trap 2
	v_rcp_iflag_f32_e32 v1, v1
	v_ashrrev_i32_e32 v5, 31, v3
	s_mov_b64 s[30:31], 0
	v_mul_f32_e32 v0, 0x4f7ffffe, v1
	v_cvt_u32_f32_e32 v4, v0
	ds_read_b64 v[0:1], v0
	v_readfirstlane_b32 s28, v4
	s_mul_i32 s8, s8, s28
	s_mul_hi_u32 s8, s28, s8
	s_add_i32 s28, s28, s8
	s_mul_hi_u32 s8, s28, -1
	s_mul_i32 s28, s8, s75
	s_not_b32 s28, s28
	s_add_i32 s29, s8, 1
	s_sub_i32 s40, s28, s75
	s_cmp_ge_u32 s28, s75
	s_cselect_b32 s8, s29, s8
	s_cselect_b32 s28, s40, s28
	s_add_i32 s29, s8, 1
	s_cmp_ge_u32 s28, s75
	s_cselect_b32 s35, s29, s8
	v_add_co_u32_e64 v12, s[28:29], v3, v26
	buffer_store_dword v26, off, s[0:3], s33 offset:200 ; 4-byte Folded Spill
	s_nop 0
	buffer_store_dword v27, off, s[0:3], s33 offset:204 ; 4-byte Folded Spill
	s_cmp_lt_i32 s34, 0
	s_cselect_b64 s[94:95], -1, 0
	v_addc_co_u32_e64 v13, s[28:29], v5, v27, s[28:29]
	s_waitcnt lgkmcnt(0)
	v_add_co_u32_e64 v14, s[28:29], v0, v3
	v_addc_co_u32_e64 v15, s[28:29], v1, v5, s[28:29]
	v_add_co_u32_e64 v42, s[28:29], v3, v24
	buffer_store_dword v24, off, s[0:3], s33 offset:152 ; 4-byte Folded Spill
	s_nop 0
	buffer_store_dword v25, off, s[0:3], s33 offset:156 ; 4-byte Folded Spill
	v_addc_co_u32_e64 v43, s[28:29], v5, v25, s[28:29]
.LBB4_611:                              ;   Parent Loop BB4_47 Depth=1
                                        ;     Parent Loop BB4_491 Depth=2
                                        ; =>    This Inner Loop Header: Depth=3
	global_load_dwordx4 v[3:6], v[12:13], off glc slc
	global_load_dwordx4 v[8:11], v[14:15], off glc slc
	v_sub_u32_e32 v47, v47, v51
	v_sub_u32_e32 v46, v46, v39
	s_waitcnt vmcnt(0)
	v_and_b32_e32 v0, 0xff00ff, v8
	v_and_b32_e32 v19, 0xff00ff, v10
	;; [unrolled: 1-line block ×5, first 2 shown]
	v_add_u32_e32 v26, v0, v10
	v_and_b32_e32 v0, 0xff00ff00, v3
	v_and_b32_e32 v8, 0xff00ff, v9
	v_add_u32_e32 v27, v1, v0
	v_and_b32_e32 v0, 0xff00ff, v4
	v_and_b32_e32 v9, 0xff00ff00, v9
	v_add_u32_e32 v31, v8, v0
	v_and_b32_e32 v0, 0xff00ff00, v4
	v_add_u32_e32 v9, v9, v0
	;; [unrolled: 2-line block ×3, first 2 shown]
	v_and_b32_e32 v0, 0xff00ff00, v5
	v_and_b32_e32 v25, 0xff00ff, v11
	v_add_u32_e32 v4, v24, v0
	v_and_b32_e32 v0, 0xff00ff, v6
	v_cmp_lt_i16_sdwa s[28:29], sext(v26), v34 src0_sel:BYTE_0 src1_sel:DWORD
	v_add_u32_e32 v3, v25, v0
	v_and_b32_e32 v0, 0xff00ff00, v6
	s_and_b64 s[28:29], s[94:95], s[28:29]
	v_sub_u16_e32 v6, 0, v26
	v_cndmask_b32_e64 v6, v26, v6, s[28:29]
	v_and_b32_e32 v6, 0xff, v6
	v_mul_hi_u32 v8, v6, s35
	v_and_b32_e32 v11, 0xff00ff00, v11
	v_add_u32_e32 v0, v11, v0
	v_perm_b32 v30, v27, v26, s64
	v_mul_lo_u32 v11, s75, v8
	v_perm_b32 v35, v9, v31, s64
	v_perm_b32 v5, v4, v10, s64
	;; [unrolled: 1-line block ×3, first 2 shown]
	v_sub_u32_e32 v6, v6, v11
	v_cmp_le_u32_e64 s[40:41], s75, v6
	v_addc_co_u32_e64 v6, s[40:41], 0, v8, s[40:41]
	v_sub_u32_e32 v8, 0, v6
	v_and_b32_e32 v11, 0x8000, v30
	v_cndmask_b32_e64 v6, v6, v8, s[28:29]
	v_lshrrev_b32_e32 v8, 8, v27
	v_cmp_ne_u32_e64 s[28:29], 0, v11
	s_and_b64 s[28:29], s[94:95], s[28:29]
	v_sub_u16_e32 v11, 0, v8
	v_cndmask_b32_e64 v8, v8, v11, s[28:29]
	v_and_b32_e32 v8, 0xff, v8
	v_mul_hi_u32 v11, v8, s35
	v_mul_lo_u32 v19, s75, v11
	v_sub_u32_e32 v8, v8, v19
	v_cmp_le_u32_e64 s[40:41], s75, v8
	v_addc_co_u32_e64 v8, s[40:41], 0, v11, s[40:41]
	v_sub_u32_e32 v11, 0, v8
	v_cndmask_b32_e64 v8, v8, v11, s[28:29]
	v_lshrrev_b32_e32 v11, 16, v26
	v_cmp_lt_i16_sdwa s[28:29], sext(v11), v34 src0_sel:BYTE_0 src1_sel:DWORD
	s_and_b64 s[28:29], s[94:95], s[28:29]
	v_sub_u16_e32 v19, 0, v11
	v_cndmask_b32_e64 v11, v11, v19, s[28:29]
	v_and_b32_e32 v11, 0xff, v11
	v_mul_hi_u32 v19, v11, s35
	v_lshlrev_b32_e32 v8, 8, v8
	v_perm_b32 v6, v8, v6, s87
	v_mul_lo_u32 v24, s75, v19
	v_sub_u32_e32 v11, v11, v24
	v_cmp_le_u32_e64 s[40:41], s75, v11
	v_addc_co_u32_e64 v11, s[40:41], 0, v19, s[40:41]
	v_sub_u32_e32 v19, 0, v11
	v_cndmask_b32_e64 v11, v11, v19, s[28:29]
	v_lshrrev_b32_e32 v19, 24, v27
	v_and_b32_e32 v24, s34, v30
	v_cmp_lt_i32_e64 s[28:29], -1, v24
	v_sub_u16_e32 v24, 0, v19
	v_cndmask_b32_e64 v19, v24, v19, s[28:29]
	v_and_b32_e32 v19, 0xff, v19
	v_mul_hi_u32 v24, v19, s35
	v_and_b32_e32 v11, 0xff, v11
	v_lshlrev_b32_e32 v11, 16, v11
	v_mul_lo_u32 v25, s75, v24
	v_sub_u32_e32 v19, v19, v25
	v_cmp_le_u32_e64 s[40:41], s75, v19
	v_addc_co_u32_e64 v19, s[40:41], 0, v24, s[40:41]
	v_sub_u32_e32 v24, 0, v19
	v_cndmask_b32_e64 v19, v24, v19, s[28:29]
	v_lshlrev_b32_e32 v19, 24, v19
	v_cmp_lt_i16_sdwa s[28:29], sext(v31), v34 src0_sel:BYTE_0 src1_sel:DWORD
	v_or3_b32 v8, v19, v11, v6
	s_and_b64 s[28:29], s[94:95], s[28:29]
	v_sub_u16_e32 v6, 0, v31
	v_cndmask_b32_e64 v6, v31, v6, s[28:29]
	v_and_b32_e32 v6, 0xff, v6
	v_mul_hi_u32 v11, v6, s35
	v_mul_lo_u32 v19, s75, v11
	v_sub_u32_e32 v6, v6, v19
	v_cmp_le_u32_e64 s[40:41], s75, v6
	v_addc_co_u32_e64 v6, s[40:41], 0, v11, s[40:41]
	v_sub_u32_e32 v11, 0, v6
	v_and_b32_e32 v19, 0x8000, v35
	v_cndmask_b32_e64 v6, v6, v11, s[28:29]
	v_lshrrev_b32_e32 v11, 8, v9
	v_cmp_ne_u32_e64 s[28:29], 0, v19
	s_and_b64 s[28:29], s[94:95], s[28:29]
	v_sub_u16_e32 v19, 0, v11
	v_cndmask_b32_e64 v11, v11, v19, s[28:29]
	v_and_b32_e32 v11, 0xff, v11
	v_mul_hi_u32 v19, v11, s35
	v_lshrrev_b32_e32 v9, 24, v9
	v_mul_lo_u32 v24, s75, v19
	v_sub_u32_e32 v11, v11, v24
	v_cmp_le_u32_e64 s[40:41], s75, v11
	v_addc_co_u32_e64 v11, s[40:41], 0, v19, s[40:41]
	v_sub_u32_e32 v19, 0, v11
	v_cndmask_b32_e64 v11, v11, v19, s[28:29]
	v_lshrrev_b32_e32 v19, 16, v31
	v_cmp_lt_i16_sdwa s[28:29], sext(v19), v34 src0_sel:BYTE_0 src1_sel:DWORD
	s_and_b64 s[28:29], s[94:95], s[28:29]
	v_sub_u16_e32 v24, 0, v19
	v_cndmask_b32_e64 v19, v19, v24, s[28:29]
	v_and_b32_e32 v19, 0xff, v19
	v_mul_hi_u32 v24, v19, s35
	v_lshlrev_b32_e32 v11, 8, v11
	v_perm_b32 v6, v11, v6, s87
	v_mul_lo_u32 v25, s75, v24
	v_sub_u32_e32 v19, v19, v25
	v_cmp_le_u32_e64 s[40:41], s75, v19
	v_addc_co_u32_e64 v19, s[40:41], 0, v24, s[40:41]
	v_sub_u32_e32 v24, 0, v19
	v_cndmask_b32_e64 v19, v19, v24, s[28:29]
	v_and_b32_e32 v24, s34, v35
	v_cmp_lt_i32_e64 s[28:29], -1, v24
	v_sub_u16_e32 v24, 0, v9
	v_cndmask_b32_e64 v9, v24, v9, s[28:29]
	v_and_b32_e32 v9, 0xff, v9
	v_mul_hi_u32 v24, v9, s35
	v_and_b32_e32 v19, 0xff, v19
	v_lshlrev_b32_e32 v19, 16, v19
	v_mul_lo_u32 v25, s75, v24
	v_sub_u32_e32 v9, v9, v25
	v_cmp_le_u32_e64 s[40:41], s75, v9
	v_addc_co_u32_e64 v9, s[40:41], 0, v24, s[40:41]
	v_sub_u32_e32 v24, 0, v9
	v_cndmask_b32_e64 v9, v24, v9, s[28:29]
	v_lshlrev_b32_e32 v9, 24, v9
	v_cmp_lt_i16_sdwa s[28:29], sext(v10), v34 src0_sel:BYTE_0 src1_sel:DWORD
	v_or3_b32 v9, v9, v19, v6
	s_and_b64 s[28:29], s[94:95], s[28:29]
	v_sub_u16_e32 v6, 0, v10
	v_cndmask_b32_e64 v6, v10, v6, s[28:29]
	v_and_b32_e32 v6, 0xff, v6
	v_mul_hi_u32 v11, v6, s35
	v_lshrrev_b32_e32 v10, 16, v10
	v_mul_lo_u32 v19, s75, v11
	v_sub_u32_e32 v6, v6, v19
	v_cmp_le_u32_e64 s[40:41], s75, v6
	v_addc_co_u32_e64 v6, s[40:41], 0, v11, s[40:41]
	v_sub_u32_e32 v11, 0, v6
	v_and_b32_e32 v19, 0x8000, v5
	v_cndmask_b32_e64 v6, v6, v11, s[28:29]
	v_lshrrev_b32_e32 v11, 8, v4
	v_cmp_ne_u32_e64 s[28:29], 0, v19
	s_and_b64 s[28:29], s[94:95], s[28:29]
	v_sub_u16_e32 v19, 0, v11
	v_cndmask_b32_e64 v11, v11, v19, s[28:29]
	v_and_b32_e32 v11, 0xff, v11
	v_mul_hi_u32 v19, v11, s35
	v_lshrrev_b32_e32 v4, 24, v4
	v_and_b32_e32 v5, s34, v5
	v_mul_lo_u32 v24, s75, v19
	v_sub_u32_e32 v11, v11, v24
	v_cmp_le_u32_e64 s[40:41], s75, v11
	v_addc_co_u32_e64 v11, s[40:41], 0, v19, s[40:41]
	v_sub_u32_e32 v19, 0, v11
	v_cndmask_b32_e64 v11, v11, v19, s[28:29]
	v_cmp_lt_i16_sdwa s[28:29], sext(v10), v34 src0_sel:BYTE_0 src1_sel:DWORD
	s_and_b64 s[28:29], s[94:95], s[28:29]
	v_sub_u16_e32 v19, 0, v10
	v_cndmask_b32_e64 v10, v10, v19, s[28:29]
	v_and_b32_e32 v10, 0xff, v10
	v_mul_hi_u32 v19, v10, s35
	v_lshlrev_b32_e32 v11, 8, v11
	v_perm_b32 v6, v11, v6, s87
	v_mul_lo_u32 v24, s75, v19
	v_sub_u32_e32 v10, v10, v24
	v_cmp_le_u32_e64 s[40:41], s75, v10
	v_addc_co_u32_e64 v10, s[40:41], 0, v19, s[40:41]
	v_sub_u32_e32 v19, 0, v10
	v_cndmask_b32_e64 v10, v10, v19, s[28:29]
	v_cmp_lt_i32_e64 s[28:29], -1, v5
	v_sub_u16_e32 v5, 0, v4
	v_cndmask_b32_e64 v4, v5, v4, s[28:29]
	v_and_b32_e32 v4, 0xff, v4
	v_mul_hi_u32 v5, v4, s35
	v_and_b32_e32 v10, 0xff, v10
	v_mul_lo_u32 v19, s75, v5
	v_sub_u32_e32 v4, v4, v19
	v_cmp_le_u32_e64 s[40:41], s75, v4
	v_addc_co_u32_e64 v4, s[40:41], 0, v5, s[40:41]
	v_sub_u32_e32 v5, 0, v4
	v_cndmask_b32_e64 v4, v5, v4, s[28:29]
	v_lshlrev_b32_e32 v5, 16, v10
	v_lshlrev_b32_e32 v4, 24, v4
	v_cmp_lt_i16_sdwa s[28:29], sext(v3), v34 src0_sel:BYTE_0 src1_sel:DWORD
	v_or3_b32 v10, v4, v5, v6
	s_and_b64 s[28:29], s[94:95], s[28:29]
	v_sub_u16_e32 v4, 0, v3
	v_cndmask_b32_e64 v4, v3, v4, s[28:29]
	v_and_b32_e32 v4, 0xff, v4
	v_mul_hi_u32 v5, v4, s35
	v_lshrrev_b32_e32 v3, 16, v3
	v_mul_lo_u32 v6, s75, v5
	v_sub_u32_e32 v4, v4, v6
	v_cmp_le_u32_e64 s[40:41], s75, v4
	v_addc_co_u32_e64 v4, s[40:41], 0, v5, s[40:41]
	v_sub_u32_e32 v5, 0, v4
	v_and_b32_e32 v6, 0x8000, v1
	v_cndmask_b32_e64 v4, v4, v5, s[28:29]
	v_lshrrev_b32_e32 v5, 8, v0
	v_cmp_ne_u32_e64 s[28:29], 0, v6
	s_and_b64 s[28:29], s[94:95], s[28:29]
	v_sub_u16_e32 v6, 0, v5
	v_cndmask_b32_e64 v5, v5, v6, s[28:29]
	v_and_b32_e32 v5, 0xff, v5
	v_mul_hi_u32 v6, v5, s35
	v_lshrrev_b32_e32 v0, 24, v0
	v_and_b32_e32 v1, s34, v1
	v_mul_lo_u32 v11, s75, v6
	v_sub_u32_e32 v5, v5, v11
	v_cmp_le_u32_e64 s[40:41], s75, v5
	v_addc_co_u32_e64 v5, s[40:41], 0, v6, s[40:41]
	v_sub_u32_e32 v6, 0, v5
	v_cndmask_b32_e64 v5, v5, v6, s[28:29]
	v_cmp_lt_i16_sdwa s[28:29], sext(v3), v34 src0_sel:BYTE_0 src1_sel:DWORD
	s_and_b64 s[28:29], s[94:95], s[28:29]
	v_sub_u16_e32 v6, 0, v3
	v_cndmask_b32_e64 v3, v3, v6, s[28:29]
	v_and_b32_e32 v3, 0xff, v3
	v_mul_hi_u32 v6, v3, s35
	v_lshlrev_b32_e32 v5, 8, v5
	v_mul_lo_u32 v11, s75, v6
	v_sub_u32_e32 v3, v3, v11
	v_cmp_le_u32_e64 s[40:41], s75, v3
	v_addc_co_u32_e64 v3, s[40:41], 0, v6, s[40:41]
	v_sub_u32_e32 v6, 0, v3
	v_cndmask_b32_e64 v3, v3, v6, s[28:29]
	v_cmp_lt_i32_e64 s[28:29], -1, v1
	v_sub_u16_e32 v1, 0, v0
	v_cndmask_b32_e64 v0, v1, v0, s[28:29]
	v_and_b32_e32 v0, 0xff, v0
	v_mul_hi_u32 v1, v0, s35
	v_and_b32_e32 v3, 0xff, v3
	v_mul_lo_u32 v6, s75, v1
	v_sub_u32_e32 v0, v0, v6
	v_cmp_le_u32_e64 s[40:41], s75, v0
	v_addc_co_u32_e64 v0, s[40:41], 0, v1, s[40:41]
	v_sub_u32_e32 v1, 0, v0
	v_cndmask_b32_e64 v0, v1, v0, s[28:29]
	v_add_co_u32_e64 v12, s[28:29], v12, v51
	v_addc_co_u32_e64 v13, s[28:29], 0, v13, s[28:29]
	v_lshlrev_b32_e32 v1, 16, v3
	v_lshlrev_b32_e32 v0, 24, v0
	v_perm_b32 v3, v5, v4, s87
	v_add_co_u32_e64 v14, s[28:29], v14, v51
	v_or3_b32 v11, v0, v1, v3
	v_addc_co_u32_e64 v15, s[28:29], 0, v15, s[28:29]
	global_store_dwordx4 v[42:43], v[8:11], off glc slc
	v_add_co_u32_e64 v42, s[28:29], v42, v51
	v_addc_co_u32_e64 v43, s[28:29], 0, v43, s[28:29]
	v_cmp_gt_i32_e64 s[28:29], 16, v47
	s_or_b64 s[30:31], s[28:29], s[30:31]
	s_andn2_b64 exec, exec, s[30:31]
	s_cbranch_execnz .LBB4_611
; %bb.612:                              ;   in Loop: Header=BB4_491 Depth=2
	s_or_b64 exec, exec, s[30:31]
	buffer_load_dword v16, off, s[0:3], s33 offset:92 ; 4-byte Folded Reload
	buffer_load_dword v17, off, s[0:3], s33 offset:96 ; 4-byte Folded Reload
	;; [unrolled: 1-line block ×11, first 2 shown]
.LBB4_613:                              ;   in Loop: Header=BB4_491 Depth=2
	s_or_b64 exec, exec, s[92:93]
	v_and_b32_e32 v0, 15, v50
	v_sub_u32_e32 v1, v45, v0
	v_cndmask_b32_e32 v1, 0, v1, vcc
	v_cndmask_b32_e32 v15, v45, v0, vcc
	v_cmp_lt_i32_e32 vcc, 0, v46
	v_cndmask_b32_e32 v0, 0, v39, vcc
	v_sub_u32_e32 v0, v0, v46
	buffer_load_dword v46, off, s[0:3], s33 offset:132 ; 4-byte Folded Reload
	buffer_load_dword v47, off, s[0:3], s33 offset:136 ; 4-byte Folded Reload
	v_cmp_ne_u32_e32 vcc, 0, v15
	s_andn2_b64 s[28:29], s[42:43], exec
	s_and_b64 s[40:41], vcc, exec
	v_add3_u32 v14, v44, v55, v1
	v_lshl_add_u32 v42, v0, 6, v53
	s_or_b64 s[42:43], s[28:29], s[40:41]
	v_mov_b32_e32 v45, 1
.LBB4_614:                              ;   in Loop: Header=BB4_491 Depth=2
	s_or_b64 exec, exec, s[90:91]
	s_and_saveexec_b64 s[40:41], s[42:43]
	s_cbranch_execnz .LBB4_618
	s_branch .LBB4_626
.LBB4_615:                              ;   in Loop: Header=BB4_491 Depth=2
	v_cmp_lt_i32_e64 s[28:29], 0, v50
	s_and_saveexec_b64 s[40:41], s[10:11]
	s_cbranch_execnz .LBB4_627
	s_branch .LBB4_580
.LBB4_616:                              ;   in Loop: Header=BB4_491 Depth=2
	s_mov_b64 s[42:43], 0
                                        ; implicit-def: $sgpr34
                                        ; implicit-def: $sgpr75
	s_andn2_b64 vcc, exec, s[40:41]
	v_mov_b32_e32 v14, 0
	s_cbranch_vccz .LBB4_604
.LBB4_617:                              ;   in Loop: Header=BB4_491 Depth=2
	v_mov_b32_e32 v15, v50
	v_mov_b32_e32 v42, v60
	s_and_saveexec_b64 s[40:41], s[42:43]
	s_cbranch_execz .LBB4_626
.LBB4_618:                              ;   in Loop: Header=BB4_491 Depth=2
	v_ashrrev_i32_e32 v0, 31, v42
	v_ashrrev_i32_e32 v1, 31, v15
	v_lshrrev_b32_e32 v0, 26, v0
	v_lshrrev_b32_e32 v1, 22, v1
	v_add_u32_e32 v0, v42, v0
	v_add_u32_e32 v1, v15, v1
	v_ashrrev_i32_e32 v53, 6, v0
	v_ashrrev_i32_e32 v43, 10, v1
	v_sub_u32_e32 v55, v43, v53
	v_cmp_lt_i32_e32 vcc, 0, v55
	s_and_saveexec_b64 s[42:43], vcc
	s_cbranch_execz .LBB4_622
; %bb.619:                              ;   in Loop: Header=BB4_491 Depth=2
	v_cvt_f32_u32_e32 v1, s75
	s_sub_i32 s8, 0, s75
	v_and_b32_e32 v0, 0xffffffc0, v0
	v_lshlrev_b32_e32 v3, 10, v53
	v_rcp_iflag_f32_e32 v1, v1
	v_sub_u32_e32 v0, v42, v0
	s_trap 2
	v_add3_u32 v3, v14, v0, v3
	v_mul_f32_e32 v1, 0x4f7ffffe, v1
	v_cvt_u32_f32_e32 v1, v1
	v_ashrrev_i32_e32 v4, 31, v3
	s_waitcnt vmcnt(0)
	v_add_co_u32_e32 v8, vcc, v3, v26
	v_readfirstlane_b32 s28, v1
	s_mul_i32 s8, s8, s28
	s_mul_hi_u32 s8, s28, s8
	s_add_i32 s28, s28, s8
	ds_read_b64 v[0:1], v0
	s_mul_hi_u32 s8, s28, -1
	s_mul_i32 s28, s8, s75
	s_not_b32 s28, s28
	s_add_i32 s29, s8, 1
	s_sub_i32 s90, s28, s75
	v_addc_co_u32_e32 v9, vcc, v4, v27, vcc
	s_cmp_ge_u32 s28, s75
	s_waitcnt lgkmcnt(0)
	v_add_co_u32_e32 v10, vcc, v0, v3
	s_cselect_b32 s8, s29, s8
	v_addc_co_u32_e32 v11, vcc, v1, v4, vcc
	s_cselect_b32 s28, s90, s28
	s_add_i32 s29, s8, 1
	v_add_co_u32_e32 v0, vcc, 0x3c0, v24
	s_cmp_ge_u32 s28, s75
	v_addc_co_u32_e32 v1, vcc, 0, v25, vcc
	s_cselect_b32 s94, s29, s8
	s_cmp_lt_i32 s34, 0
	v_add_co_u32_e32 v12, vcc, v0, v3
	v_mov_b32_e32 v7, v50
	v_mov_b32_e32 v2, v49
	s_cselect_b64 s[90:91], -1, 0
	v_addc_co_u32_e32 v13, vcc, v1, v4, vcc
	s_mov_b64 s[92:93], 0
.LBB4_620:                              ;   Parent Loop BB4_47 Depth=1
                                        ;     Parent Loop BB4_491 Depth=2
                                        ; =>    This Inner Loop Header: Depth=3
	flat_load_ubyte v0, v[8:9] glc slc
	flat_load_ubyte v1, v[8:9] offset:64 glc slc
	flat_load_ubyte v3, v[8:9] offset:128 glc slc
	flat_load_ubyte v4, v[8:9] offset:192 glc slc
	flat_load_ubyte v5, v[8:9] offset:256 glc slc
	flat_load_ubyte v6, v[8:9] offset:320 glc slc
	flat_load_ubyte v19, v[8:9] offset:384 glc slc
	flat_load_ubyte v24, v[8:9] offset:448 glc slc
	flat_load_ubyte v25, v[8:9] offset:512 glc slc
	flat_load_ubyte v26, v[8:9] offset:576 glc slc
	flat_load_ubyte v27, v[8:9] offset:640 glc slc
	flat_load_ubyte v30, v[8:9] offset:704 glc slc
	flat_load_ubyte v35, v[8:9] offset:768 glc slc
	flat_load_ubyte v36, v[8:9] offset:832 glc slc
	flat_load_ubyte v37, v[8:9] offset:896 glc slc
	flat_load_ubyte v38, v[8:9] offset:960 glc slc
	flat_load_ubyte v31, v[10:11] glc slc
	flat_load_ubyte v39, v[10:11] offset:64 glc slc
	flat_load_ubyte v48, v[10:11] offset:128 glc slc
	;; [unrolled: 1-line block ×15, first 2 shown]
	s_waitcnt vmcnt(0) lgkmcnt(0)
	v_add_u16_e32 v61, v31, v0
	v_cmp_lt_i16_sdwa s[28:29], sext(v61), v34 src0_sel:BYTE_0 src1_sel:DWORD
	s_and_b64 vcc, s[90:91], s[28:29]
	v_add_u16_e32 v49, v49, v4
	v_sub_u16_e32 v4, 0, v61
	v_cndmask_b32_e32 v4, v61, v4, vcc
	v_and_b32_e32 v4, 0xff, v4
	v_add_u16_e32 v50, v50, v5
	v_mul_hi_u32 v5, v4, s94
	v_add_u16_e32 v39, v39, v1
	v_add_u16_e32 v31, v45, v27
	;; [unrolled: 1-line block ×3, first 2 shown]
	v_mul_lo_u32 v27, s75, v5
	v_add_u16_e32 v51, v52, v19
	v_add_u16_e32 v19, v47, v35
	;; [unrolled: 1-line block ×3, first 2 shown]
	v_sub_u32_e32 v4, v4, v27
	v_cmp_le_u32_e64 s[28:29], s75, v4
	v_addc_co_u32_e64 v4, s[28:29], 0, v5, s[28:29]
	v_sub_u32_e32 v5, 0, v4
	v_cmp_lt_i16_sdwa s[28:29], sext(v39), v34 src0_sel:BYTE_0 src1_sel:DWORD
	v_cndmask_b32_e32 v4, v4, v5, vcc
	s_and_b64 vcc, s[90:91], s[28:29]
	v_sub_u16_e32 v5, 0, v39
	v_cndmask_b32_e32 v5, v39, v5, vcc
	v_and_b32_e32 v5, 0xff, v5
	v_mul_hi_u32 v27, v5, s94
	v_add_u16_e32 v3, v56, v36
	v_add_u16_e32 v0, v58, v38
	v_add_u16_e32 v1, v57, v37
	v_mul_lo_u32 v35, s75, v27
	v_add_u16_e32 v24, v40, v24
	v_add_u16_e32 v25, v41, v25
	;; [unrolled: 1-line block ×3, first 2 shown]
	v_sub_u32_e32 v5, v5, v35
	v_cmp_le_u32_e64 s[28:29], s75, v5
	v_addc_co_u32_e64 v5, s[28:29], 0, v27, s[28:29]
	v_sub_u32_e32 v27, 0, v5
	v_cmp_lt_i16_sdwa s[28:29], sext(v48), v34 src0_sel:BYTE_0 src1_sel:DWORD
	v_cndmask_b32_e32 v5, v5, v27, vcc
	s_and_b64 vcc, s[90:91], s[28:29]
	v_sub_u16_e32 v27, 0, v48
	v_cndmask_b32_e32 v27, v48, v27, vcc
	v_and_b32_e32 v27, 0xff, v27
	v_mul_hi_u32 v35, v27, s94
	v_add_u16_e32 v30, v46, v30
	v_mul_lo_u32 v36, s75, v35
	v_sub_u32_e32 v27, v27, v36
	v_cmp_le_u32_e64 s[28:29], s75, v27
	v_addc_co_u32_e64 v27, s[28:29], 0, v35, s[28:29]
	v_sub_u32_e32 v35, 0, v27
	v_cmp_lt_i16_sdwa s[28:29], sext(v49), v34 src0_sel:BYTE_0 src1_sel:DWORD
	v_cndmask_b32_e32 v38, v27, v35, vcc
	s_and_b64 vcc, s[90:91], s[28:29]
	v_sub_u16_e32 v27, 0, v49
	v_cndmask_b32_e32 v27, v49, v27, vcc
	v_and_b32_e32 v27, 0xff, v27
	v_mul_hi_u32 v35, v27, s94
	v_mul_lo_u32 v36, s75, v35
	v_sub_u32_e32 v27, v27, v36
	v_cmp_le_u32_e64 s[28:29], s75, v27
	v_addc_co_u32_e64 v27, s[28:29], 0, v35, s[28:29]
	v_sub_u32_e32 v35, 0, v27
	v_cmp_lt_i16_sdwa s[28:29], sext(v50), v34 src0_sel:BYTE_0 src1_sel:DWORD
	v_cndmask_b32_e32 v39, v27, v35, vcc
	s_and_b64 vcc, s[90:91], s[28:29]
	v_sub_u16_e32 v27, 0, v50
	v_cndmask_b32_e32 v27, v50, v27, vcc
	v_and_b32_e32 v27, 0xff, v27
	v_mul_hi_u32 v35, v27, s94
	;; [unrolled: 12-line block ×13, first 2 shown]
	v_mul_lo_u32 v6, s75, v1
	v_sub_u32_e32 v0, v0, v6
	v_cmp_le_u32_e64 s[28:29], s75, v0
	v_addc_co_u32_e64 v0, s[28:29], 0, v1, s[28:29]
	v_sub_u32_e32 v1, 0, v0
	v_cndmask_b32_e32 v40, v0, v1, vcc
	v_add_co_u32_e32 v0, vcc, s65, v12
	v_addc_co_u32_e32 v1, vcc, -1, v13, vcc
	flat_store_byte v[0:1], v4 glc slc
	v_add_co_u32_e32 v0, vcc, s66, v12
	v_addc_co_u32_e32 v1, vcc, -1, v13, vcc
	flat_store_byte v[0:1], v5 glc slc
	;; [unrolled: 3-line block ×13, first 2 shown]
	v_add_co_u32_e32 v0, vcc, s86, v12
	v_addc_co_u32_e32 v1, vcc, -1, v13, vcc
	buffer_load_dword v39, off, s[0:3], s33 offset:56 ; 4-byte Folded Reload
	s_nop 0
	flat_store_byte v[0:1], v51 glc slc
	buffer_load_dword v51, off, s[0:3], s33 offset:60 ; 4-byte Folded Reload
	v_add_co_u32_e32 v0, vcc, s54, v12
	v_addc_co_u32_e32 v1, vcc, -1, v13, vcc
	flat_store_byte v[0:1], v3 glc slc
	flat_store_byte v[12:13], v40 glc slc
	s_waitcnt vmcnt(0)
	v_sub_u32_e32 v55, v55, v39
	v_add_co_u32_e32 v8, vcc, v8, v51
	v_addc_co_u32_e32 v9, vcc, 0, v9, vcc
	v_add_co_u32_e32 v10, vcc, v10, v51
	v_addc_co_u32_e32 v11, vcc, 0, v11, vcc
	;; [unrolled: 2-line block ×3, first 2 shown]
	v_cmp_gt_i32_e32 vcc, 1, v55
	s_or_b64 s[92:93], vcc, s[92:93]
	s_andn2_b64 exec, exec, s[92:93]
	s_cbranch_execnz .LBB4_620
; %bb.621:                              ;   in Loop: Header=BB4_491 Depth=2
	s_or_b64 exec, exec, s[92:93]
	buffer_load_dword v16, off, s[0:3], s33 offset:92 ; 4-byte Folded Reload
	buffer_load_dword v17, off, s[0:3], s33 offset:96 ; 4-byte Folded Reload
	;; [unrolled: 1-line block ×19, first 2 shown]
	v_mov_b32_e32 v45, 1
	v_mov_b32_e32 v49, v2
	;; [unrolled: 1-line block ×3, first 2 shown]
.LBB4_622:                              ;   in Loop: Header=BB4_491 Depth=2
	s_or_b64 exec, exec, s[42:43]
	v_lshlrev_b32_e32 v0, 10, v43
	v_cmp_ne_u32_e32 vcc, v15, v0
	s_and_b64 exec, exec, vcc
	s_cbranch_execz .LBB4_626
; %bb.623:                              ;   in Loop: Header=BB4_491 Depth=2
	v_lshlrev_b32_e32 v1, 6, v53
	v_sub_u32_e32 v1, v42, v1
	v_lshlrev_b32_e32 v3, 6, v55
	v_sub_u32_e32 v1, v1, v3
	v_add_u32_e32 v1, v0, v1
	v_sub_u32_e32 v0, v15, v1
	v_cmp_lt_i32_e32 vcc, 0, v0
	s_and_b64 exec, exec, vcc
	s_cbranch_execz .LBB4_626
; %bb.624:                              ;   in Loop: Header=BB4_491 Depth=2
	v_cvt_f32_u32_e32 v3, s75
	s_sub_i32 s8, 0, s75
	s_trap 2
	v_add_u32_e32 v1, v1, v14
	v_rcp_iflag_f32_e32 v3, v3
	v_ashrrev_i32_e32 v13, 31, v1
	s_mov_b64 s[90:91], 0
	v_mul_f32_e32 v3, 0x4f7ffffe, v3
	v_cvt_u32_f32_e32 v3, v3
	v_readfirstlane_b32 s28, v3
	s_mul_i32 s8, s8, s28
	ds_read_b128 v[3:6], v0
	s_mul_hi_u32 s8, s28, s8
	s_add_i32 s28, s28, s8
	s_mul_hi_u32 s8, s28, -1
	s_mul_i32 s28, s8, s75
	s_not_b32 s28, s28
	s_waitcnt lgkmcnt(0)
	v_add_co_u32_e32 v8, vcc, v3, v1
	s_add_i32 s29, s8, 1
	s_sub_i32 s42, s28, s75
	v_addc_co_u32_e32 v9, vcc, v4, v13, vcc
	ds_read_b64 v[3:4], v0
	s_cmp_ge_u32 s28, s75
	s_cselect_b32 s8, s29, s8
	s_cselect_b32 s28, s42, s28
	s_add_i32 s29, s8, 1
	v_add_co_u32_e32 v10, vcc, v5, v1
	s_cmp_ge_u32 s28, s75
	v_addc_co_u32_e32 v11, vcc, v6, v13, vcc
	s_cselect_b32 s92, s29, s8
	s_waitcnt lgkmcnt(0)
	v_add_co_u32_e32 v12, vcc, v3, v1
	s_cmp_lt_i32 s34, 0
	v_addc_co_u32_e32 v13, vcc, v4, v13, vcc
	s_cselect_b64 s[42:43], -1, 0
.LBB4_625:                              ;   Parent Loop BB4_47 Depth=1
                                        ;     Parent Loop BB4_491 Depth=2
                                        ; =>    This Inner Loop Header: Depth=3
	flat_load_ubyte v1, v[8:9] glc slc
	flat_load_ubyte v3, v[10:11] glc slc
	s_waitcnt vmcnt(0)
	v_add_co_u32_e32 v8, vcc, v8, v31
	v_addc_co_u32_e32 v9, vcc, 0, v9, vcc
	v_add_co_u32_e32 v10, vcc, v10, v31
	v_addc_co_u32_e32 v11, vcc, 0, v11, vcc
	v_sub_u32_e32 v0, v0, v31
	v_cmp_gt_i32_e32 vcc, 1, v0
	s_waitcnt lgkmcnt(0)
	v_add_u16_e32 v1, v3, v1
	v_cmp_lt_i16_sdwa s[28:29], sext(v1), v34 src0_sel:BYTE_0 src1_sel:DWORD
	v_sub_u16_e32 v3, 0, v1
	s_and_b64 s[28:29], s[42:43], s[28:29]
	v_cndmask_b32_e64 v1, v1, v3, s[28:29]
	v_and_b32_e32 v1, 0xff, v1
	v_mul_hi_u32 v3, v1, s92
	s_or_b64 s[90:91], vcc, s[90:91]
	v_mul_lo_u32 v4, s75, v3
	v_sub_u32_e32 v1, v1, v4
	v_cmp_le_u32_e32 vcc, s75, v1
	v_addc_co_u32_e32 v1, vcc, 0, v3, vcc
	v_sub_u32_e32 v3, 0, v1
	v_cndmask_b32_e64 v1, v1, v3, s[28:29]
	flat_store_byte v[12:13], v1 glc slc
	v_add_co_u32_e32 v12, vcc, v12, v31
	v_addc_co_u32_e32 v13, vcc, 0, v13, vcc
	s_andn2_b64 exec, exec, s[90:91]
	s_cbranch_execnz .LBB4_625
.LBB4_626:                              ;   in Loop: Header=BB4_491 Depth=2
	s_or_b64 exec, exec, s[40:41]
	v_cmp_lt_i32_e64 s[28:29], 0, v50
	s_and_saveexec_b64 s[40:41], s[10:11]
	s_cbranch_execz .LBB4_580
.LBB4_627:                              ;   in Loop: Header=BB4_491 Depth=2
	s_and_saveexec_b64 s[42:43], s[56:57]
	s_xor_b64 s[42:43], exec, s[42:43]
	s_cbranch_execz .LBB4_642
; %bb.628:                              ;   in Loop: Header=BB4_491 Depth=2
	s_and_saveexec_b64 s[90:91], s[16:17]
	s_cbranch_execz .LBB4_641
; %bb.629:                              ;   in Loop: Header=BB4_491 Depth=2
	s_mov_b64 s[94:95], exec
	v_mbcnt_lo_u32_b32 v0, s94, 0
	v_mbcnt_hi_u32_b32 v0, s95, v0
	v_cmp_eq_u32_e32 vcc, 0, v0
	s_waitcnt vmcnt(0) lgkmcnt(0)
	buffer_wbinvl1_vol
	s_and_saveexec_b64 s[92:93], vcc
	s_cbranch_execz .LBB4_631
; %bb.630:                              ;   in Loop: Header=BB4_491 Depth=2
	s_bcnt1_i32_b64 s8, s[94:95]
	v_mov_b32_e32 v0, s8
	v_mov_b32_e32 v1, v34
	ds_add_u64 v0, v[0:1]
	s_trap 2
.LBB4_631:                              ;   in Loop: Header=BB4_491 Depth=2
	s_or_b64 exec, exec, s[92:93]
	s_trap 2
	ds_read_b64 v[0:1], v0
	s_waitcnt lgkmcnt(0)
	v_add_co_u32_e32 v28, vcc, v28, v39
	v_addc_co_u32_e32 v29, vcc, 0, v29, vcc
	v_cmp_lt_u64_e32 vcc, v[0:1], v[28:29]
	s_and_saveexec_b64 s[92:93], vcc
	s_cbranch_execz .LBB4_640
; %bb.632:                              ;   in Loop: Header=BB4_491 Depth=2
	s_mov_b32 s8, 0
	s_mov_b64 s[94:95], 0
                                        ; implicit-def: $sgpr30_sgpr31
                                        ; implicit-def: $sgpr34_sgpr35
	s_branch .LBB4_634
.LBB4_633:                              ;   in Loop: Header=BB4_634 Depth=3
	s_or_b64 exec, exec, s[38:39]
	s_and_b64 vcc, exec, vcc
	s_or_b64 s[94:95], vcc, s[94:95]
	s_andn2_b64 vcc, s[30:31], exec
	s_and_b64 s[30:31], s[34:35], exec
	s_or_b64 s[30:31], vcc, s[30:31]
	s_andn2_b64 exec, exec, s[94:95]
	s_cbranch_execz .LBB4_638
.LBB4_634:                              ;   Parent Loop BB4_47 Depth=1
                                        ;     Parent Loop BB4_491 Depth=2
                                        ; =>    This Inner Loop Header: Depth=3
	s_add_i32 s8, s8, 1
	s_cmpk_lg_i32 s8, 0x2710
	s_cselect_b64 s[36:37], -1, 0
	s_and_b64 vcc, exec, s[36:37]
	s_cbranch_vccz .LBB4_636
; %bb.635:                              ;   in Loop: Header=BB4_634 Depth=3
	s_mov_b64 vcc, -1
	s_or_b64 s[34:35], s[34:35], exec
	s_and_saveexec_b64 s[38:39], s[36:37]
	s_cbranch_execz .LBB4_633
	s_branch .LBB4_637
.LBB4_636:                              ;   in Loop: Header=BB4_634 Depth=3
	s_trap 2
	ds_read_b64 v[0:1], v0
	s_andn2_b64 s[36:37], s[36:37], exec
	s_mov_b32 s8, 0
	s_waitcnt lgkmcnt(0)
	flat_load_dword v0, v[0:1] glc
	s_waitcnt vmcnt(0) lgkmcnt(0)
	buffer_wbinvl1_vol
	v_cmp_eq_u32_e32 vcc, 0, v0
	s_and_b64 vcc, vcc, exec
	s_or_b64 s[36:37], s[36:37], vcc
	s_mov_b64 vcc, -1
	s_or_b64 s[34:35], s[34:35], exec
	s_and_saveexec_b64 s[38:39], s[36:37]
	s_cbranch_execz .LBB4_633
.LBB4_637:                              ;   in Loop: Header=BB4_634 Depth=3
	s_sleep 1
	s_trap 2
	ds_read_b64 v[0:1], v0
	s_waitcnt lgkmcnt(0)
	s_andn2_b64 s[34:35], s[34:35], exec
	v_cmp_ge_u64_e32 vcc, v[0:1], v[28:29]
	s_orn2_b64 vcc, vcc, exec
	s_branch .LBB4_633
.LBB4_638:                              ;   in Loop: Header=BB4_491 Depth=2
	s_or_b64 exec, exec, s[94:95]
	s_and_saveexec_b64 s[94:95], s[30:31]
	s_xor_b64 s[94:95], exec, s[94:95]
	s_cbranch_execz .LBB4_640
; %bb.639:                              ;   in Loop: Header=BB4_491 Depth=2
	ds_write_b32 v0, v45
	s_trap 2
.LBB4_640:                              ;   in Loop: Header=BB4_491 Depth=2
	s_or_b64 exec, exec, s[92:93]
	;;#ASMSTART
	s_wakeup
	;;#ASMEND
.LBB4_641:                              ;   in Loop: Header=BB4_491 Depth=2
	s_or_b64 exec, exec, s[90:91]
.LBB4_642:                              ;   in Loop: Header=BB4_491 Depth=2
	s_andn2_saveexec_b64 s[42:43], s[42:43]
	s_cbranch_execz .LBB4_644
; %bb.643:                              ;   in Loop: Header=BB4_491 Depth=2
	s_waitcnt vmcnt(0) lgkmcnt(0)
	buffer_wbinvl1_vol
	s_barrier
.LBB4_644:                              ;   in Loop: Header=BB4_491 Depth=2
	s_or_b64 exec, exec, s[42:43]
	s_or_b64 exec, exec, s[40:41]
                                        ; implicit-def: $vgpr0
	s_and_saveexec_b64 s[40:41], s[24:25]
	s_xor_b64 s[40:41], exec, s[40:41]
	s_cbranch_execnz .LBB4_581
.LBB4_645:                              ;   in Loop: Header=BB4_491 Depth=2
	s_andn2_saveexec_b64 s[28:29], s[40:41]
	s_cbranch_execz .LBB4_664
.LBB4_646:                              ;   in Loop: Header=BB4_491 Depth=2
	s_and_saveexec_b64 s[40:41], s[56:57]
	s_xor_b64 s[40:41], exec, s[40:41]
	s_cbranch_execz .LBB4_661
; %bb.647:                              ;   in Loop: Header=BB4_491 Depth=2
	s_and_saveexec_b64 s[42:43], s[16:17]
	s_cbranch_execz .LBB4_660
; %bb.648:                              ;   in Loop: Header=BB4_491 Depth=2
	s_mov_b64 s[92:93], exec
	v_mbcnt_lo_u32_b32 v0, s92, 0
	v_mbcnt_hi_u32_b32 v0, s93, v0
	v_cmp_eq_u32_e32 vcc, 0, v0
	;;#ASMSTART
	s_waitcnt lgkmcnt(0) vmcnt(0)
	;;#ASMEND
	s_and_saveexec_b64 s[90:91], vcc
	s_cbranch_execz .LBB4_650
; %bb.649:                              ;   in Loop: Header=BB4_491 Depth=2
	s_bcnt1_i32_b64 s8, s[92:93]
	v_mov_b32_e32 v0, s8
	v_mov_b32_e32 v1, v34
	s_waitcnt lgkmcnt(0)
	ds_add_u64 v0, v[0:1]
	s_trap 2
.LBB4_650:                              ;   in Loop: Header=BB4_491 Depth=2
	s_or_b64 exec, exec, s[90:91]
	s_trap 2
	ds_read_b64 v[0:1], v0
	s_waitcnt lgkmcnt(0)
	v_add_co_u32_e32 v28, vcc, v28, v39
	v_addc_co_u32_e32 v29, vcc, 0, v29, vcc
	v_cmp_lt_u64_e32 vcc, v[0:1], v[28:29]
	s_and_saveexec_b64 s[90:91], vcc
	s_cbranch_execz .LBB4_659
; %bb.651:                              ;   in Loop: Header=BB4_491 Depth=2
	s_mov_b32 s8, 0
	s_mov_b64 s[92:93], 0
                                        ; implicit-def: $sgpr94_sgpr95
                                        ; implicit-def: $sgpr30_sgpr31
	s_branch .LBB4_653
.LBB4_652:                              ;   in Loop: Header=BB4_653 Depth=3
	s_or_b64 exec, exec, s[36:37]
	s_and_b64 vcc, exec, vcc
	s_or_b64 s[92:93], vcc, s[92:93]
	s_andn2_b64 s[94:95], s[94:95], exec
	s_and_b64 vcc, s[30:31], exec
	s_or_b64 s[94:95], s[94:95], vcc
	s_andn2_b64 exec, exec, s[92:93]
	s_cbranch_execz .LBB4_657
.LBB4_653:                              ;   Parent Loop BB4_47 Depth=1
                                        ;     Parent Loop BB4_491 Depth=2
                                        ; =>    This Inner Loop Header: Depth=3
	s_add_i32 s8, s8, 1
	s_cmpk_lg_i32 s8, 0x2710
	s_cselect_b64 s[34:35], -1, 0
	s_and_b64 vcc, exec, s[34:35]
	s_cbranch_vccz .LBB4_655
; %bb.654:                              ;   in Loop: Header=BB4_653 Depth=3
	s_mov_b64 vcc, -1
	s_or_b64 s[30:31], s[30:31], exec
	s_and_saveexec_b64 s[36:37], s[34:35]
	s_cbranch_execz .LBB4_652
	s_branch .LBB4_656
.LBB4_655:                              ;   in Loop: Header=BB4_653 Depth=3
	s_trap 2
	ds_read_b64 v[0:1], v0
	s_andn2_b64 s[34:35], s[34:35], exec
	s_mov_b32 s8, 0
	s_waitcnt vmcnt(0) lgkmcnt(0)
	flat_load_dword v0, v[0:1] glc
	s_waitcnt vmcnt(0) lgkmcnt(0)
	buffer_wbinvl1_vol
	v_cmp_eq_u32_e32 vcc, 0, v0
	s_and_b64 vcc, vcc, exec
	s_or_b64 s[34:35], s[34:35], vcc
	s_mov_b64 vcc, -1
	s_or_b64 s[30:31], s[30:31], exec
	s_and_saveexec_b64 s[36:37], s[34:35]
	s_cbranch_execz .LBB4_652
.LBB4_656:                              ;   in Loop: Header=BB4_653 Depth=3
	s_sleep 1
	s_trap 2
	ds_read_b64 v[0:1], v0
	s_waitcnt lgkmcnt(0)
	s_andn2_b64 s[30:31], s[30:31], exec
	v_cmp_ge_u64_e32 vcc, v[0:1], v[28:29]
	s_orn2_b64 vcc, vcc, exec
	s_branch .LBB4_652
.LBB4_657:                              ;   in Loop: Header=BB4_491 Depth=2
	s_or_b64 exec, exec, s[92:93]
	s_and_saveexec_b64 s[92:93], s[94:95]
	s_xor_b64 s[92:93], exec, s[92:93]
	s_cbranch_execz .LBB4_659
; %bb.658:                              ;   in Loop: Header=BB4_491 Depth=2
	ds_write_b32 v0, v45
	s_trap 2
.LBB4_659:                              ;   in Loop: Header=BB4_491 Depth=2
	s_or_b64 exec, exec, s[90:91]
	;;#ASMSTART
	s_wakeup
	;;#ASMEND
.LBB4_660:                              ;   in Loop: Header=BB4_491 Depth=2
	s_or_b64 exec, exec, s[42:43]
.LBB4_661:                              ;   in Loop: Header=BB4_491 Depth=2
	s_andn2_saveexec_b64 s[40:41], s[40:41]
	s_cbranch_execz .LBB4_663
; %bb.662:                              ;   in Loop: Header=BB4_491 Depth=2
	;;#ASMSTART
	s_waitcnt lgkmcnt(0) vmcnt(0)
	;;#ASMEND
	s_waitcnt vmcnt(0) lgkmcnt(0)
	s_barrier
.LBB4_663:                              ;   in Loop: Header=BB4_491 Depth=2
	s_or_b64 exec, exec, s[40:41]
	v_and_b32_e32 v0, 16, v59
.LBB4_664:                              ;   in Loop: Header=BB4_491 Depth=2
	s_or_b64 exec, exec, s[28:29]
	v_cmp_ne_u32_e32 vcc, 0, v0
	s_xor_b64 s[28:29], s[12:13], -1
	s_and_b64 s[40:41], vcc, s[28:29]
	s_and_saveexec_b64 s[28:29], s[40:41]
	s_cbranch_execz .LBB4_666
; %bb.665:                              ;   in Loop: Header=BB4_491 Depth=2
	s_waitcnt vmcnt(0)
	flat_store_dword v[46:47], v45
.LBB4_666:                              ;   in Loop: Header=BB4_491 Depth=2
	s_or_b64 exec, exec, s[28:29]
	v_and_b32_e32 v0, 48, v59
	v_cmp_ne_u32_e32 vcc, 0, v0
	s_and_saveexec_b64 s[28:29], vcc
	s_cbranch_execz .LBB4_490
; %bb.667:                              ;   in Loop: Header=BB4_491 Depth=2
	v_add_co_u32_e32 v20, vcc, 2, v20
	v_addc_co_u32_e32 v21, vcc, 0, v21, vcc
	flat_store_dwordx2 v[22:23], v[20:21]
	s_branch .LBB4_490
.LBB4_668:                              ;   in Loop: Header=BB4_47 Depth=1
	s_or_b64 exec, exec, s[76:77]
	v_cmp_gt_i32_e32 vcc, 2, v0
	s_and_saveexec_b64 s[40:41], vcc
	s_cbranch_execz .LBB4_744
.LBB4_669:                              ;   in Loop: Header=BB4_47 Depth=1
	v_cmp_eq_u32_e64 s[76:77], 0, v0
	s_mov_b64 s[42:43], 0
	s_branch .LBB4_671
.LBB4_670:                              ;   in Loop: Header=BB4_671 Depth=2
	s_or_b64 exec, exec, s[28:29]
	v_add_u32_e32 v54, v49, v54
	s_mov_b64 s[76:77], 0
	s_andn2_b64 exec, exec, s[42:43]
	s_cbranch_execz .LBB4_745
.LBB4_671:                              ;   Parent Loop BB4_47 Depth=1
                                        ; =>  This Loop Header: Depth=2
                                        ;       Child Loop BB4_677 Depth 3
                                        ;       Child Loop BB4_705 Depth 3
                                        ;       Child Loop BB4_728 Depth 3
	v_sub_u32_e32 v0, v48, v54
	v_min_i32_e32 v49, v49, v0
	v_and_b32_e32 v0, 12, v59
	v_cmp_ne_u32_e32 vcc, 0, v0
	s_and_saveexec_b64 s[78:79], vcc
	s_cbranch_execz .LBB4_697
; %bb.672:                              ;   in Loop: Header=BB4_671 Depth=2
	v_and_b32_e32 v0, 8, v59
	s_waitcnt vmcnt(0) lgkmcnt(0)
	v_add_co_u32_e32 v3, vcc, v32, v0
	v_addc_co_u32_e32 v4, vcc, 0, v33, vcc
	v_add_co_u32_e32 v8, vcc, 2, v20
	v_addc_co_u32_e32 v9, vcc, 0, v21, vcc
	v_cmp_lt_u64_e32 vcc, v[3:4], v[8:9]
	s_and_saveexec_b64 s[88:89], vcc
	s_cbranch_execz .LBB4_684
; %bb.673:                              ;   in Loop: Header=BB4_671 Depth=2
	v_and_b32_e32 v1, 64, v59
	s_mov_b32 s9, 0
	v_cmp_eq_u32_e32 vcc, 0, v1
	s_mov_b64 s[90:91], 0
                                        ; implicit-def: $sgpr92_sgpr93
                                        ; implicit-def: $sgpr94_sgpr95
                                        ; implicit-def: $sgpr30_sgpr31
	s_branch .LBB4_677
.LBB4_674:                              ;   in Loop: Header=BB4_677 Depth=3
	s_waitcnt vmcnt(0) lgkmcnt(0)
	v_add_co_u32_e64 v3, s[28:29], v32, v0
	v_addc_co_u32_e64 v4, s[28:29], 0, v33, s[28:29]
	v_cmp_ge_u64_e64 s[28:29], v[3:4], v[8:9]
	s_or_b64 s[38:39], s[38:39], exec
	s_orn2_b64 s[36:37], s[28:29], exec
.LBB4_675:                              ;   in Loop: Header=BB4_677 Depth=3
	s_or_b64 exec, exec, s[50:51]
	s_andn2_b64 s[28:29], s[30:31], exec
	s_and_b64 s[30:31], s[38:39], exec
	s_or_b64 s[30:31], s[28:29], s[30:31]
	s_andn2_b64 s[28:29], s[94:95], exec
	s_and_b64 s[94:95], s[36:37], exec
	s_or_b64 s[94:95], s[28:29], s[94:95]
.LBB4_676:                              ;   in Loop: Header=BB4_677 Depth=3
	s_or_b64 exec, exec, s[34:35]
	s_and_b64 s[28:29], exec, s[94:95]
	s_or_b64 s[90:91], s[28:29], s[90:91]
	s_andn2_b64 s[28:29], s[92:93], exec
	s_and_b64 s[92:93], s[30:31], exec
	s_or_b64 s[92:93], s[28:29], s[92:93]
	s_andn2_b64 exec, exec, s[90:91]
	s_cbranch_execz .LBB4_681
.LBB4_677:                              ;   Parent Loop BB4_47 Depth=1
                                        ;     Parent Loop BB4_671 Depth=2
                                        ; =>    This Inner Loop Header: Depth=3
	s_sleep 1
	s_waitcnt vmcnt(0) lgkmcnt(0)
	flat_load_dwordx2 v[32:33], v[22:23] glc
	s_or_b64 s[30:31], s[30:31], exec
	s_or_b64 s[94:95], s[94:95], exec
                                        ; implicit-def: $vgpr1
	s_and_saveexec_b64 s[34:35], vcc
	s_cbranch_execz .LBB4_676
; %bb.678:                              ;   in Loop: Header=BB4_677 Depth=3
	s_cmpk_lt_i32 s9, 0x270f
	s_cselect_b64 s[48:49], -1, 0
	s_cmpk_gt_i32 s9, 0x270e
	s_mov_b64 s[36:37], -1
	s_cbranch_scc0 .LBB4_680
; %bb.679:                              ;   in Loop: Header=BB4_677 Depth=3
	s_trap 2
	ds_read_b64 v[3:4], v0
	s_andn2_b64 s[48:49], s[48:49], exec
	s_mov_b32 s9, 0
	s_mov_b64 s[38:39], 0
	s_waitcnt vmcnt(0) lgkmcnt(0)
	flat_load_dword v1, v[3:4] glc
	s_waitcnt vmcnt(0) lgkmcnt(0)
	buffer_wbinvl1_vol
	v_cmp_eq_u32_e64 s[28:29], 0, v1
	s_and_b64 s[28:29], s[28:29], exec
	s_or_b64 s[48:49], s[48:49], s[28:29]
	s_and_saveexec_b64 s[50:51], s[48:49]
	s_cbranch_execz .LBB4_675
	s_branch .LBB4_674
.LBB4_680:                              ;   in Loop: Header=BB4_677 Depth=3
	s_add_i32 s9, s9, 1
	s_mov_b64 s[38:39], -1
                                        ; implicit-def: $vgpr1
	s_and_saveexec_b64 s[50:51], s[48:49]
	s_cbranch_execz .LBB4_675
	s_branch .LBB4_674
.LBB4_681:                              ;   in Loop: Header=BB4_671 Depth=2
	s_or_b64 exec, exec, s[90:91]
	s_xor_b64 s[8:9], s[92:93], -1
	s_and_saveexec_b64 s[28:29], s[8:9]
	s_xor_b64 s[28:29], exec, s[28:29]
	s_cbranch_execz .LBB4_683
; %bb.682:                              ;   in Loop: Header=BB4_671 Depth=2
	v_or_b32_e32 v59, 64, v59
	s_waitcnt lgkmcnt(0)
	ds_write_b32 v0, v1
	s_trap 2
.LBB4_683:                              ;   in Loop: Header=BB4_671 Depth=2
	s_or_b64 exec, exec, s[28:29]
.LBB4_684:                              ;   in Loop: Header=BB4_671 Depth=2
	s_or_b64 exec, exec, s[88:89]
	v_and_b32_e32 v1, 0x108, v59
	v_cmp_ne_u32_e32 vcc, s55, v1
	;;#ASMSTART
	s_wakeup
	;;#ASMEND
                                        ; implicit-def: $vgpr10_vgpr11
	s_and_saveexec_b64 s[8:9], vcc
	s_xor_b64 s[28:29], exec, s[8:9]
; %bb.685:                              ;   in Loop: Header=BB4_671 Depth=2
	v_and_b32_e32 v10, 7, v20
	v_mov_b32_e32 v11, v34
                                        ; implicit-def: $vgpr20_vgpr21
; %bb.686:                              ;   in Loop: Header=BB4_671 Depth=2
	s_andn2_saveexec_b64 s[28:29], s[28:29]
	s_cbranch_execz .LBB4_688
; %bb.687:                              ;   in Loop: Header=BB4_671 Depth=2
	v_and_b32_e32 v10, 7, v20
	v_mad_u64_u32 v[3:4], s[8:9], v10, 24, v[16:17]
	v_mov_b32_e32 v11, v34
	v_ashrrev_i32_e32 v50, 31, v49
	flat_store_dwordx2 v[3:4], v[49:50] offset:8
.LBB4_688:                              ;   in Loop: Header=BB4_671 Depth=2
	s_or_b64 exec, exec, s[28:29]
	v_and_b32_e32 v1, 0x100, v59
	v_cmp_ne_u32_e32 vcc, 0, v1
	s_mov_b64 s[28:29], -1
                                        ; implicit-def: $vgpr12_vgpr13
	s_and_saveexec_b64 s[88:89], vcc
	s_cbranch_execz .LBB4_692
; %bb.689:                              ;   in Loop: Header=BB4_671 Depth=2
	v_mad_u64_u32 v[14:15], s[8:9], v10, 24, v[16:17]
                                        ; implicit-def: $vgpr12_vgpr13
	v_mov_b32_e32 v1, v15
	v_mad_u64_u32 v[3:4], s[8:9], v11, 24, v[1:2]
	v_mov_b32_e32 v15, v3
	flat_load_dword v1, v[14:15]
	s_waitcnt vmcnt(0) lgkmcnt(0)
	v_cmp_ne_u32_e32 vcc, 1, v1
	v_cmp_eq_u32_e64 s[28:29], 1, v1
	s_and_saveexec_b64 s[90:91], s[28:29]
	s_cbranch_execz .LBB4_691
; %bb.690:                              ;   in Loop: Header=BB4_671 Depth=2
	flat_load_dword v12, v[14:15] offset:4 glc
	s_waitcnt vmcnt(0) lgkmcnt(0)
	v_ashrrev_i32_e32 v13, 31, v12
.LBB4_691:                              ;   in Loop: Header=BB4_671 Depth=2
	s_or_b64 exec, exec, s[90:91]
	s_orn2_b64 s[28:29], vcc, exec
.LBB4_692:                              ;   in Loop: Header=BB4_671 Depth=2
	s_or_b64 exec, exec, s[88:89]
	s_and_saveexec_b64 s[88:89], s[28:29]
	s_cbranch_execz .LBB4_694
; %bb.693:                              ;   in Loop: Header=BB4_671 Depth=2
	v_mul_lo_u32 v1, v11, v61
	v_mul_lo_u32 v3, v10, v58
	v_mad_u64_u32 v[12:13], s[8:9], v10, v61, 0
	v_add3_u32 v13, v13, v3, v1
.LBB4_694:                              ;   in Loop: Header=BB4_671 Depth=2
	s_or_b64 exec, exec, s[88:89]
	v_cmp_eq_u32_e32 vcc, 0, v0
	v_mov_b32_e32 v0, 0xd0
	v_mov_b32_e32 v1, 0x90
	v_cndmask_b32_e32 v3, v0, v1, vcc
	v_add_co_u32_e32 v0, vcc, v56, v12
	v_addc_co_u32_e32 v1, vcc, v57, v13, vcc
	v_add_u32_e32 v3, v0, v3
	ds_write_b64 v3, v[0:1] offset:584
	v_and_b32_e32 v0, 0x2000, v59
	v_cmp_ne_u32_e32 vcc, 0, v0
	s_and_saveexec_b64 s[28:29], vcc
	s_cbranch_execz .LBB4_696
; %bb.695:                              ;   in Loop: Header=BB4_671 Depth=2
	ds_read_b64 v[0:1], v0 offset:872
	s_waitcnt lgkmcnt(0)
	v_add_co_u32_e32 v0, vcc, 1, v0
	v_addc_co_u32_e32 v1, vcc, 0, v1, vcc
	ds_write_b64 v0, v[0:1] offset:872
.LBB4_696:                              ;   in Loop: Header=BB4_671 Depth=2
	s_or_b64 exec, exec, s[28:29]
	v_mov_b32_e32 v21, v9
	v_mov_b32_e32 v20, v8
.LBB4_697:                              ;   in Loop: Header=BB4_671 Depth=2
	s_or_b64 exec, exec, s[78:79]
	s_xor_b64 s[8:9], s[76:77], -1
	s_and_b64 s[8:9], exec, s[8:9]
	s_or_b64 s[42:43], s[8:9], s[42:43]
	s_and_saveexec_b64 s[28:29], s[10:11]
	s_cbranch_execz .LBB4_716
; %bb.698:                              ;   in Loop: Header=BB4_671 Depth=2
	s_and_saveexec_b64 s[8:9], s[56:57]
	s_xor_b64 s[76:77], exec, s[8:9]
	s_cbranch_execz .LBB4_713
; %bb.699:                              ;   in Loop: Header=BB4_671 Depth=2
	s_and_saveexec_b64 s[78:79], s[16:17]
	s_cbranch_execz .LBB4_712
; %bb.700:                              ;   in Loop: Header=BB4_671 Depth=2
	s_mov_b64 s[90:91], exec
	v_mbcnt_lo_u32_b32 v0, s90, 0
	v_mbcnt_hi_u32_b32 v0, s91, v0
	v_cmp_eq_u32_e32 vcc, 0, v0
	s_waitcnt vmcnt(0) lgkmcnt(0)
	buffer_wbinvl1_vol
	s_and_saveexec_b64 s[88:89], vcc
	s_cbranch_execz .LBB4_702
; %bb.701:                              ;   in Loop: Header=BB4_671 Depth=2
	s_bcnt1_i32_b64 s8, s[90:91]
	v_mov_b32_e32 v0, s8
	v_mov_b32_e32 v1, v34
	ds_add_u64 v0, v[0:1]
	s_trap 2
.LBB4_702:                              ;   in Loop: Header=BB4_671 Depth=2
	s_or_b64 exec, exec, s[88:89]
	s_trap 2
	ds_read_b64 v[0:1], v0
	s_waitcnt lgkmcnt(0)
	v_add_co_u32_e32 v28, vcc, v28, v39
	v_addc_co_u32_e32 v29, vcc, 0, v29, vcc
	v_cmp_lt_u64_e32 vcc, v[0:1], v[28:29]
	s_and_saveexec_b64 s[88:89], vcc
	s_cbranch_execz .LBB4_711
; %bb.703:                              ;   in Loop: Header=BB4_671 Depth=2
	s_mov_b32 s8, 0
	s_mov_b64 s[90:91], 0
                                        ; implicit-def: $sgpr92_sgpr93
                                        ; implicit-def: $sgpr94_sgpr95
	s_branch .LBB4_705
.LBB4_704:                              ;   in Loop: Header=BB4_705 Depth=3
	s_or_b64 exec, exec, s[34:35]
	s_and_b64 vcc, exec, vcc
	s_or_b64 s[90:91], vcc, s[90:91]
	s_andn2_b64 s[92:93], s[92:93], exec
	s_and_b64 vcc, s[94:95], exec
	s_or_b64 s[92:93], s[92:93], vcc
	s_andn2_b64 exec, exec, s[90:91]
	s_cbranch_execz .LBB4_709
.LBB4_705:                              ;   Parent Loop BB4_47 Depth=1
                                        ;     Parent Loop BB4_671 Depth=2
                                        ; =>    This Inner Loop Header: Depth=3
	s_add_i32 s8, s8, 1
	s_cmpk_lg_i32 s8, 0x2710
	s_cselect_b64 s[30:31], -1, 0
	s_and_b64 vcc, exec, s[30:31]
	s_cbranch_vccz .LBB4_707
; %bb.706:                              ;   in Loop: Header=BB4_705 Depth=3
	s_mov_b64 vcc, -1
	s_or_b64 s[94:95], s[94:95], exec
	s_and_saveexec_b64 s[34:35], s[30:31]
	s_cbranch_execz .LBB4_704
	s_branch .LBB4_708
.LBB4_707:                              ;   in Loop: Header=BB4_705 Depth=3
	s_trap 2
	ds_read_b64 v[0:1], v0
	s_andn2_b64 s[30:31], s[30:31], exec
	s_mov_b32 s8, 0
	s_waitcnt lgkmcnt(0)
	flat_load_dword v0, v[0:1] glc
	s_waitcnt vmcnt(0) lgkmcnt(0)
	buffer_wbinvl1_vol
	v_cmp_eq_u32_e32 vcc, 0, v0
	s_and_b64 vcc, vcc, exec
	s_or_b64 s[30:31], s[30:31], vcc
	s_mov_b64 vcc, -1
	s_or_b64 s[94:95], s[94:95], exec
	s_and_saveexec_b64 s[34:35], s[30:31]
	s_cbranch_execz .LBB4_704
.LBB4_708:                              ;   in Loop: Header=BB4_705 Depth=3
	s_sleep 1
	s_trap 2
	ds_read_b64 v[0:1], v0
	s_waitcnt lgkmcnt(0)
	s_andn2_b64 s[94:95], s[94:95], exec
	v_cmp_ge_u64_e32 vcc, v[0:1], v[28:29]
	s_orn2_b64 vcc, vcc, exec
	s_branch .LBB4_704
.LBB4_709:                              ;   in Loop: Header=BB4_671 Depth=2
	s_or_b64 exec, exec, s[90:91]
	s_and_saveexec_b64 s[8:9], s[92:93]
	s_xor_b64 s[8:9], exec, s[8:9]
	s_cbranch_execz .LBB4_711
; %bb.710:                              ;   in Loop: Header=BB4_671 Depth=2
	ds_write_b32 v0, v45
	s_trap 2
.LBB4_711:                              ;   in Loop: Header=BB4_671 Depth=2
	s_or_b64 exec, exec, s[88:89]
	;;#ASMSTART
	s_wakeup
	;;#ASMEND
.LBB4_712:                              ;   in Loop: Header=BB4_671 Depth=2
	s_or_b64 exec, exec, s[78:79]
.LBB4_713:                              ;   in Loop: Header=BB4_671 Depth=2
	s_andn2_saveexec_b64 s[76:77], s[76:77]
	s_cbranch_execz .LBB4_715
; %bb.714:                              ;   in Loop: Header=BB4_671 Depth=2
	s_waitcnt vmcnt(0) lgkmcnt(0)
	buffer_wbinvl1_vol
	s_barrier
.LBB4_715:                              ;   in Loop: Header=BB4_671 Depth=2
	s_or_b64 exec, exec, s[76:77]
.LBB4_716:                              ;   in Loop: Header=BB4_671 Depth=2
	s_or_b64 exec, exec, s[28:29]
                                        ; implicit-def: $vgpr0
	s_and_saveexec_b64 s[8:9], s[24:25]
	s_xor_b64 s[28:29], exec, s[8:9]
	s_cbranch_execz .LBB4_720
; %bb.717:                              ;   in Loop: Header=BB4_671 Depth=2
	s_trap 2
	ds_read_b32 v0, v0
	v_cmp_lt_i32_e32 vcc, 0, v49
	v_and_b32_e32 v1, 16, v59
	s_waitcnt lgkmcnt(0)
	v_readfirstlane_b32 s8, v0
	s_cmp_eq_u32 s8, 0
	s_cselect_b64 s[8:9], -1, 0
	s_and_b64 s[8:9], vcc, s[8:9]
	v_cmp_ne_u32_e32 vcc, 0, v1
	v_and_b32_e32 v0, 16, v59
	s_and_b64 s[8:9], vcc, s[8:9]
	s_and_saveexec_b64 s[76:77], s[8:9]
	s_cbranch_execz .LBB4_719
; %bb.718:                              ;   in Loop: Header=BB4_671 Depth=2
	v_mov_b32_e32 v0, 1
	s_waitcnt vmcnt(0)
	buffer_wbinvl1_vol
.LBB4_719:                              ;   in Loop: Header=BB4_671 Depth=2
	s_or_b64 exec, exec, s[76:77]
	s_andn2_saveexec_b64 s[28:29], s[28:29]
	s_cbranch_execz .LBB4_739
	s_branch .LBB4_721
.LBB4_720:                              ;   in Loop: Header=BB4_671 Depth=2
	s_andn2_saveexec_b64 s[28:29], s[28:29]
	s_cbranch_execz .LBB4_739
.LBB4_721:                              ;   in Loop: Header=BB4_671 Depth=2
	s_and_saveexec_b64 s[8:9], s[56:57]
	s_xor_b64 s[76:77], exec, s[8:9]
	s_cbranch_execz .LBB4_736
; %bb.722:                              ;   in Loop: Header=BB4_671 Depth=2
	s_and_saveexec_b64 s[78:79], s[16:17]
	s_cbranch_execz .LBB4_735
; %bb.723:                              ;   in Loop: Header=BB4_671 Depth=2
	s_mov_b64 s[90:91], exec
	v_mbcnt_lo_u32_b32 v0, s90, 0
	v_mbcnt_hi_u32_b32 v0, s91, v0
	v_cmp_eq_u32_e32 vcc, 0, v0
	;;#ASMSTART
	s_waitcnt lgkmcnt(0) vmcnt(0)
	;;#ASMEND
	s_and_saveexec_b64 s[88:89], vcc
	s_cbranch_execz .LBB4_725
; %bb.724:                              ;   in Loop: Header=BB4_671 Depth=2
	s_bcnt1_i32_b64 s8, s[90:91]
	v_mov_b32_e32 v0, s8
	v_mov_b32_e32 v1, v34
	s_waitcnt lgkmcnt(0)
	ds_add_u64 v0, v[0:1]
	s_trap 2
.LBB4_725:                              ;   in Loop: Header=BB4_671 Depth=2
	s_or_b64 exec, exec, s[88:89]
	s_trap 2
	ds_read_b64 v[0:1], v0
	s_waitcnt lgkmcnt(0)
	v_add_co_u32_e32 v28, vcc, v28, v39
	v_addc_co_u32_e32 v29, vcc, 0, v29, vcc
	v_cmp_lt_u64_e32 vcc, v[0:1], v[28:29]
	s_and_saveexec_b64 s[88:89], vcc
	s_cbranch_execz .LBB4_734
; %bb.726:                              ;   in Loop: Header=BB4_671 Depth=2
	s_mov_b32 s8, 0
	s_mov_b64 s[90:91], 0
                                        ; implicit-def: $sgpr92_sgpr93
                                        ; implicit-def: $sgpr94_sgpr95
	s_branch .LBB4_728
.LBB4_727:                              ;   in Loop: Header=BB4_728 Depth=3
	s_or_b64 exec, exec, s[34:35]
	s_and_b64 vcc, exec, vcc
	s_or_b64 s[90:91], vcc, s[90:91]
	s_andn2_b64 s[92:93], s[92:93], exec
	s_and_b64 vcc, s[94:95], exec
	s_or_b64 s[92:93], s[92:93], vcc
	s_andn2_b64 exec, exec, s[90:91]
	s_cbranch_execz .LBB4_732
.LBB4_728:                              ;   Parent Loop BB4_47 Depth=1
                                        ;     Parent Loop BB4_671 Depth=2
                                        ; =>    This Inner Loop Header: Depth=3
	s_add_i32 s8, s8, 1
	s_cmpk_lg_i32 s8, 0x2710
	s_cselect_b64 s[30:31], -1, 0
	s_and_b64 vcc, exec, s[30:31]
	s_cbranch_vccz .LBB4_730
; %bb.729:                              ;   in Loop: Header=BB4_728 Depth=3
	s_mov_b64 vcc, -1
	s_or_b64 s[94:95], s[94:95], exec
	s_and_saveexec_b64 s[34:35], s[30:31]
	s_cbranch_execz .LBB4_727
	s_branch .LBB4_731
.LBB4_730:                              ;   in Loop: Header=BB4_728 Depth=3
	s_trap 2
	ds_read_b64 v[0:1], v0
	s_andn2_b64 s[30:31], s[30:31], exec
	s_mov_b32 s8, 0
	s_waitcnt vmcnt(0) lgkmcnt(0)
	flat_load_dword v0, v[0:1] glc
	s_waitcnt vmcnt(0) lgkmcnt(0)
	buffer_wbinvl1_vol
	v_cmp_eq_u32_e32 vcc, 0, v0
	s_and_b64 vcc, vcc, exec
	s_or_b64 s[30:31], s[30:31], vcc
	s_mov_b64 vcc, -1
	s_or_b64 s[94:95], s[94:95], exec
	s_and_saveexec_b64 s[34:35], s[30:31]
	s_cbranch_execz .LBB4_727
.LBB4_731:                              ;   in Loop: Header=BB4_728 Depth=3
	s_sleep 1
	s_trap 2
	ds_read_b64 v[0:1], v0
	s_waitcnt lgkmcnt(0)
	s_andn2_b64 s[94:95], s[94:95], exec
	v_cmp_ge_u64_e32 vcc, v[0:1], v[28:29]
	s_orn2_b64 vcc, vcc, exec
	s_branch .LBB4_727
.LBB4_732:                              ;   in Loop: Header=BB4_671 Depth=2
	s_or_b64 exec, exec, s[90:91]
	s_and_saveexec_b64 s[8:9], s[92:93]
	s_xor_b64 s[8:9], exec, s[8:9]
	s_cbranch_execz .LBB4_734
; %bb.733:                              ;   in Loop: Header=BB4_671 Depth=2
	ds_write_b32 v0, v45
	s_trap 2
.LBB4_734:                              ;   in Loop: Header=BB4_671 Depth=2
	s_or_b64 exec, exec, s[88:89]
	;;#ASMSTART
	s_wakeup
	;;#ASMEND
.LBB4_735:                              ;   in Loop: Header=BB4_671 Depth=2
	s_or_b64 exec, exec, s[78:79]
.LBB4_736:                              ;   in Loop: Header=BB4_671 Depth=2
	s_andn2_saveexec_b64 s[76:77], s[76:77]
	s_cbranch_execz .LBB4_738
; %bb.737:                              ;   in Loop: Header=BB4_671 Depth=2
	;;#ASMSTART
	s_waitcnt lgkmcnt(0) vmcnt(0)
	;;#ASMEND
	s_waitcnt vmcnt(0) lgkmcnt(0)
	s_barrier
.LBB4_738:                              ;   in Loop: Header=BB4_671 Depth=2
	s_or_b64 exec, exec, s[76:77]
	v_and_b32_e32 v0, 16, v59
.LBB4_739:                              ;   in Loop: Header=BB4_671 Depth=2
	s_or_b64 exec, exec, s[28:29]
	v_cmp_ne_u32_e32 vcc, 0, v0
	s_xor_b64 s[8:9], s[12:13], -1
	s_and_b64 s[8:9], vcc, s[8:9]
	s_and_saveexec_b64 s[28:29], s[8:9]
	s_cbranch_execz .LBB4_741
; %bb.740:                              ;   in Loop: Header=BB4_671 Depth=2
	flat_store_dword v[46:47], v45
.LBB4_741:                              ;   in Loop: Header=BB4_671 Depth=2
	s_or_b64 exec, exec, s[28:29]
	v_and_b32_e32 v0, 48, v59
	v_cmp_ne_u32_e32 vcc, 0, v0
	s_and_saveexec_b64 s[28:29], vcc
	s_cbranch_execz .LBB4_670
; %bb.742:                              ;   in Loop: Header=BB4_671 Depth=2
	v_add_co_u32_e32 v20, vcc, 2, v20
	v_addc_co_u32_e32 v21, vcc, 0, v21, vcc
	flat_store_dwordx2 v[22:23], v[20:21]
	s_branch .LBB4_670
.LBB4_743:                              ;   in Loop: Header=BB4_47 Depth=1
	s_or_b64 exec, exec, s[78:79]
	s_or_b64 exec, exec, s[76:77]
	v_cmp_gt_i32_e32 vcc, 2, v0
	s_and_saveexec_b64 s[40:41], vcc
	s_cbranch_execnz .LBB4_669
.LBB4_744:                              ;   in Loop: Header=BB4_47 Depth=1
	s_or_b64 exec, exec, s[40:41]
	s_and_b64 vcc, exec, s[26:27]
	s_cbranch_vccz .LBB4_746
	s_branch .LBB4_1002
.LBB4_745:                              ;   in Loop: Header=BB4_47 Depth=1
	s_or_b64 exec, exec, s[42:43]
	s_or_b64 exec, exec, s[40:41]
	s_and_b64 vcc, exec, s[26:27]
	s_cbranch_vccnz .LBB4_1002
.LBB4_746:                              ;   in Loop: Header=BB4_47 Depth=1
	s_mov_b32 s9, 1
.LBB4_747:                              ;   Parent Loop BB4_47 Depth=1
                                        ; =>  This Loop Header: Depth=2
                                        ;       Child Loop BB4_750 Depth 3
                                        ;         Child Loop BB4_758 Depth 4
                                        ;         Child Loop BB4_786 Depth 4
	;; [unrolled: 1-line block ×9, first 2 shown]
                                        ;           Child Loop BB4_840 Depth 5
                                        ;         Child Loop BB4_847 Depth 4
                                        ;         Child Loop BB4_852 Depth 4
                                        ;           Child Loop BB4_853 Depth 5
                                        ;         Child Loop BB4_889 Depth 4
                                        ;         Child Loop BB4_908 Depth 4
                                        ;       Child Loop BB4_926 Depth 3
                                        ;         Child Loop BB4_932 Depth 4
                                        ;         Child Loop BB4_960 Depth 4
	;; [unrolled: 1-line block ×3, first 2 shown]
	buffer_load_dword v2, off, s[0:3], s33 offset:172 ; 4-byte Folded Reload
	buffer_load_dword v3, off, s[0:3], s33 offset:176 ; 4-byte Folded Reload
	s_sub_i32 s8, s98, s9
	s_cmp_ge_i32 s8, s52
	s_cselect_b32 s26, s52, 0
	s_sub_i32 s8, s8, s26
	s_ashr_i32 s28, s8, 31
	v_mov_b32_e32 v15, 0
	s_waitcnt vmcnt(0)
	v_mad_u64_u32 v[8:9], s[26:27], v2, s8, 0
	v_mul_lo_u32 v0, v3, s8
	v_mul_lo_u32 v1, v2, s28
	v_add3_u32 v9, v9, v1, v0
	buffer_load_dword v0, off, s[0:3], s33 offset:164 ; 4-byte Folded Reload
	buffer_load_dword v1, off, s[0:3], s33 offset:168 ; 4-byte Folded Reload
	s_waitcnt vmcnt(0)
	v_sub_co_u32_e32 v0, vcc, v0, v8
	v_subb_co_u32_e32 v1, vcc, v1, v9, vcc
	v_cmp_lt_i64_e32 vcc, v[2:3], v[0:1]
	v_cndmask_b32_e32 v0, v0, v2, vcc
	v_max_i32_e32 v3, 0, v0
	v_add_u32_e32 v1, 31, v3
	v_lshrrev_b32_e32 v1, 1, v1
	v_and_b32_e32 v1, 0x3ffffff0, v1
	v_cmp_lt_i32_e32 vcc, 0, v0
	v_max_i32_e32 v12, s47, v1
	s_and_b64 s[26:27], s[72:73], vcc
	v_mov_b32_e32 v0, 0
	s_and_saveexec_b64 s[42:43], s[26:27]
	s_cbranch_execz .LBB4_923
; %bb.748:                              ;   in Loop: Header=BB4_747 Depth=2
	buffer_load_dword v0, off, s[0:3], s33 offset:84 ; 4-byte Folded Reload
	s_mov_b32 s75, 1
	s_mov_b64 s[78:79], -1
	v_mov_b32_e32 v15, 0
	s_mov_b64 s[76:77], 0
	s_waitcnt vmcnt(0)
	v_add_co_u32_e32 v42, vcc, v8, v0
	buffer_load_dword v0, off, s[0:3], s33 offset:88 ; 4-byte Folded Reload
	s_waitcnt vmcnt(0)
	v_addc_co_u32_e32 v43, vcc, v9, v0, vcc
	s_branch .LBB4_750
.LBB4_749:                              ;   in Loop: Header=BB4_750 Depth=3
	s_or_b64 exec, exec, s[26:27]
	v_add_u32_e32 v15, v12, v15
	v_cmp_ge_i32_e32 vcc, v15, v3
	s_xor_b64 s[26:27], s[78:79], -1
	s_or_b64 s[26:27], s[26:27], vcc
	s_and_b64 s[26:27], exec, s[26:27]
	s_or_b64 s[76:77], s[26:27], s[76:77]
	s_mov_b64 s[78:79], 0
	v_mov_b32_e32 v0, s75
	s_mov_b32 s75, 2
	s_andn2_b64 exec, exec, s[76:77]
	s_cbranch_execz .LBB4_998
.LBB4_750:                              ;   Parent Loop BB4_47 Depth=1
                                        ;     Parent Loop BB4_747 Depth=2
                                        ; =>    This Loop Header: Depth=3
                                        ;         Child Loop BB4_758 Depth 4
                                        ;         Child Loop BB4_786 Depth 4
	;; [unrolled: 1-line block ×9, first 2 shown]
                                        ;           Child Loop BB4_840 Depth 5
                                        ;         Child Loop BB4_847 Depth 4
                                        ;         Child Loop BB4_852 Depth 4
                                        ;           Child Loop BB4_853 Depth 5
                                        ;         Child Loop BB4_889 Depth 4
                                        ;         Child Loop BB4_908 Depth 4
	s_and_saveexec_b64 s[26:27], s[4:5]
	s_cbranch_execz .LBB4_752
; %bb.751:                              ;   in Loop: Header=BB4_750 Depth=3
	s_trap 2
	s_waitcnt vmcnt(0)
	ds_read_b128 v[8:11], v0
	v_ashrrev_i32_e32 v2, 31, v15
	s_waitcnt lgkmcnt(0)
	v_add_co_u32_e32 v0, vcc, v8, v42
	v_addc_co_u32_e32 v1, vcc, v9, v43, vcc
	v_add_co_u32_e32 v0, vcc, v0, v15
	v_addc_co_u32_e32 v1, vcc, v1, v2, vcc
	ds_write_b64 v0, v[0:1]
	v_add_co_u32_e32 v0, vcc, v10, v42
	v_addc_co_u32_e32 v1, vcc, v11, v43, vcc
	v_add_co_u32_e32 v0, vcc, v0, v15
	v_addc_co_u32_e32 v1, vcc, v1, v2, vcc
	v_cmp_ne_u64_e32 vcc, 0, v[10:11]
	v_cndmask_b32_e32 v1, 0, v1, vcc
	v_cndmask_b32_e32 v0, 0, v0, vcc
	ds_write_b64 v0, v[0:1]
.LBB4_752:                              ;   in Loop: Header=BB4_750 Depth=3
	s_or_b64 exec, exec, s[26:27]
	v_sub_u32_e32 v0, v3, v15
	v_min_i32_e32 v12, v12, v0
	v_and_b32_e32 v0, 12, v59
	v_cmp_ne_u32_e32 vcc, 0, v0
	s_and_saveexec_b64 s[28:29], vcc
	s_cbranch_execz .LBB4_778
; %bb.753:                              ;   in Loop: Header=BB4_750 Depth=3
	v_and_b32_e32 v0, 8, v59
	s_waitcnt vmcnt(0) lgkmcnt(0)
	v_add_co_u32_e32 v4, vcc, v32, v0
	v_addc_co_u32_e32 v5, vcc, 0, v33, vcc
	v_add_co_u32_e32 v8, vcc, 2, v20
	v_addc_co_u32_e32 v9, vcc, 0, v21, vcc
	v_cmp_lt_u64_e32 vcc, v[4:5], v[8:9]
	s_and_saveexec_b64 s[40:41], vcc
	s_cbranch_execz .LBB4_765
; %bb.754:                              ;   in Loop: Header=BB4_750 Depth=3
	v_and_b32_e32 v1, 64, v59
	s_mov_b32 s8, 0
	v_cmp_eq_u32_e32 vcc, 0, v1
	s_mov_b64 s[88:89], 0
                                        ; implicit-def: $sgpr90_sgpr91
                                        ; implicit-def: $sgpr92_sgpr93
                                        ; implicit-def: $sgpr94_sgpr95
	s_branch .LBB4_758
.LBB4_755:                              ;   in Loop: Header=BB4_758 Depth=4
	s_waitcnt vmcnt(0) lgkmcnt(0)
	v_add_co_u32_e64 v4, s[26:27], v32, v0
	v_addc_co_u32_e64 v5, s[26:27], 0, v33, s[26:27]
	v_cmp_ge_u64_e64 s[26:27], v[4:5], v[8:9]
	s_or_b64 s[36:37], s[36:37], exec
	s_orn2_b64 s[34:35], s[26:27], exec
.LBB4_756:                              ;   in Loop: Header=BB4_758 Depth=4
	s_or_b64 exec, exec, s[48:49]
	s_andn2_b64 s[26:27], s[94:95], exec
	s_and_b64 s[94:95], s[36:37], exec
	s_or_b64 s[94:95], s[26:27], s[94:95]
	s_andn2_b64 s[26:27], s[92:93], exec
	s_and_b64 s[92:93], s[34:35], exec
	s_or_b64 s[92:93], s[26:27], s[92:93]
.LBB4_757:                              ;   in Loop: Header=BB4_758 Depth=4
	s_or_b64 exec, exec, s[30:31]
	s_and_b64 s[26:27], exec, s[92:93]
	s_or_b64 s[88:89], s[26:27], s[88:89]
	s_andn2_b64 s[26:27], s[90:91], exec
	s_and_b64 s[90:91], s[94:95], exec
	s_or_b64 s[90:91], s[26:27], s[90:91]
	s_andn2_b64 exec, exec, s[88:89]
	s_cbranch_execz .LBB4_762
.LBB4_758:                              ;   Parent Loop BB4_47 Depth=1
                                        ;     Parent Loop BB4_747 Depth=2
                                        ;       Parent Loop BB4_750 Depth=3
                                        ; =>      This Inner Loop Header: Depth=4
	s_sleep 1
	s_waitcnt vmcnt(0) lgkmcnt(0)
	flat_load_dwordx2 v[32:33], v[22:23] glc
	s_or_b64 s[94:95], s[94:95], exec
	s_or_b64 s[92:93], s[92:93], exec
                                        ; implicit-def: $vgpr1
	s_and_saveexec_b64 s[30:31], vcc
	s_cbranch_execz .LBB4_757
; %bb.759:                              ;   in Loop: Header=BB4_758 Depth=4
	s_cmpk_lt_i32 s8, 0x270f
	s_cselect_b64 s[38:39], -1, 0
	s_cmpk_gt_i32 s8, 0x270e
	s_mov_b64 s[34:35], -1
	s_cbranch_scc0 .LBB4_761
; %bb.760:                              ;   in Loop: Header=BB4_758 Depth=4
	s_trap 2
	ds_read_b64 v[4:5], v0
	s_andn2_b64 s[38:39], s[38:39], exec
	s_mov_b32 s8, 0
	s_mov_b64 s[36:37], 0
	s_waitcnt vmcnt(0) lgkmcnt(0)
	flat_load_dword v1, v[4:5] glc
	s_waitcnt vmcnt(0) lgkmcnt(0)
	buffer_wbinvl1_vol
	v_cmp_eq_u32_e64 s[26:27], 0, v1
	s_and_b64 s[26:27], s[26:27], exec
	s_or_b64 s[38:39], s[38:39], s[26:27]
	s_and_saveexec_b64 s[48:49], s[38:39]
	s_cbranch_execz .LBB4_756
	s_branch .LBB4_755
.LBB4_761:                              ;   in Loop: Header=BB4_758 Depth=4
	s_add_i32 s8, s8, 1
	s_mov_b64 s[36:37], -1
                                        ; implicit-def: $vgpr1
	s_and_saveexec_b64 s[48:49], s[38:39]
	s_cbranch_execz .LBB4_756
	s_branch .LBB4_755
.LBB4_762:                              ;   in Loop: Header=BB4_750 Depth=3
	s_or_b64 exec, exec, s[88:89]
	s_xor_b64 s[26:27], s[90:91], -1
	s_and_saveexec_b64 s[88:89], s[26:27]
	s_xor_b64 s[26:27], exec, s[88:89]
	s_cbranch_execz .LBB4_764
; %bb.763:                              ;   in Loop: Header=BB4_750 Depth=3
	v_or_b32_e32 v59, 64, v59
	s_waitcnt lgkmcnt(0)
	ds_write_b32 v0, v1
	s_trap 2
.LBB4_764:                              ;   in Loop: Header=BB4_750 Depth=3
	s_or_b64 exec, exec, s[26:27]
.LBB4_765:                              ;   in Loop: Header=BB4_750 Depth=3
	s_or_b64 exec, exec, s[40:41]
	v_and_b32_e32 v1, 0x108, v59
	v_cmp_ne_u32_e32 vcc, s55, v1
	;;#ASMSTART
	s_wakeup
	;;#ASMEND
                                        ; implicit-def: $vgpr10_vgpr11
	s_and_saveexec_b64 s[26:27], vcc
	s_xor_b64 s[26:27], exec, s[26:27]
; %bb.766:                              ;   in Loop: Header=BB4_750 Depth=3
	v_and_b32_e32 v10, 7, v20
	v_mov_b32_e32 v11, v34
                                        ; implicit-def: $vgpr20_vgpr21
; %bb.767:                              ;   in Loop: Header=BB4_750 Depth=3
	s_andn2_saveexec_b64 s[26:27], s[26:27]
	s_cbranch_execz .LBB4_769
; %bb.768:                              ;   in Loop: Header=BB4_750 Depth=3
	v_and_b32_e32 v10, 7, v20
	v_mad_u64_u32 v[4:5], s[40:41], v10, 24, v[16:17]
	v_mov_b32_e32 v11, v34
	v_ashrrev_i32_e32 v13, 31, v12
	flat_store_dwordx2 v[4:5], v[12:13] offset:8
.LBB4_769:                              ;   in Loop: Header=BB4_750 Depth=3
	s_or_b64 exec, exec, s[26:27]
	v_and_b32_e32 v1, 0x100, v59
	v_cmp_ne_u32_e32 vcc, 0, v1
	s_mov_b64 s[26:27], -1
                                        ; implicit-def: $vgpr13_vgpr14
	s_and_saveexec_b64 s[40:41], vcc
	s_cbranch_execz .LBB4_773
; %bb.770:                              ;   in Loop: Header=BB4_750 Depth=3
	v_mad_u64_u32 v[48:49], s[26:27], v10, 24, v[16:17]
                                        ; implicit-def: $vgpr13_vgpr14
	v_mov_b32_e32 v1, v49
	v_mad_u64_u32 v[4:5], s[26:27], v11, 24, v[1:2]
	v_mov_b32_e32 v49, v4
	flat_load_dword v1, v[48:49]
	s_waitcnt vmcnt(0) lgkmcnt(0)
	v_cmp_ne_u32_e32 vcc, 1, v1
	v_cmp_eq_u32_e64 s[26:27], 1, v1
	s_and_saveexec_b64 s[88:89], s[26:27]
	s_cbranch_execz .LBB4_772
; %bb.771:                              ;   in Loop: Header=BB4_750 Depth=3
	flat_load_dword v13, v[48:49] offset:4 glc
	s_waitcnt vmcnt(0) lgkmcnt(0)
	v_ashrrev_i32_e32 v14, 31, v13
.LBB4_772:                              ;   in Loop: Header=BB4_750 Depth=3
	s_or_b64 exec, exec, s[88:89]
	s_orn2_b64 s[26:27], vcc, exec
.LBB4_773:                              ;   in Loop: Header=BB4_750 Depth=3
	s_or_b64 exec, exec, s[40:41]
	s_and_saveexec_b64 s[40:41], s[26:27]
	s_cbranch_execz .LBB4_775
; %bb.774:                              ;   in Loop: Header=BB4_750 Depth=3
	v_mul_lo_u32 v1, v11, v61
	v_mul_lo_u32 v2, v10, v58
	v_mad_u64_u32 v[13:14], s[26:27], v10, v61, 0
	v_add3_u32 v14, v14, v2, v1
.LBB4_775:                              ;   in Loop: Header=BB4_750 Depth=3
	s_or_b64 exec, exec, s[40:41]
	v_cmp_eq_u32_e32 vcc, 0, v0
	v_mov_b32_e32 v0, 0xd0
	v_mov_b32_e32 v1, 0x88
	v_cndmask_b32_e32 v2, v0, v1, vcc
	v_add_co_u32_e32 v0, vcc, v56, v13
	v_addc_co_u32_e32 v1, vcc, v57, v14, vcc
	v_add_u32_e32 v2, v0, v2
	ds_write_b64 v2, v[0:1] offset:584
	v_and_b32_e32 v0, 0x2000, v59
	v_cmp_ne_u32_e32 vcc, 0, v0
	s_and_saveexec_b64 s[26:27], vcc
	s_cbranch_execz .LBB4_777
; %bb.776:                              ;   in Loop: Header=BB4_750 Depth=3
	ds_read_b64 v[0:1], v0 offset:872
	s_waitcnt lgkmcnt(0)
	v_add_co_u32_e32 v0, vcc, 1, v0
	v_addc_co_u32_e32 v1, vcc, 0, v1, vcc
	ds_write_b64 v0, v[0:1] offset:872
.LBB4_777:                              ;   in Loop: Header=BB4_750 Depth=3
	s_or_b64 exec, exec, s[26:27]
	v_mov_b32_e32 v21, v9
	v_mov_b32_e32 v20, v8
.LBB4_778:                              ;   in Loop: Header=BB4_750 Depth=3
	s_or_b64 exec, exec, s[28:29]
	s_and_saveexec_b64 s[26:27], s[10:11]
	s_cbranch_execz .LBB4_797
; %bb.779:                              ;   in Loop: Header=BB4_750 Depth=3
	s_and_saveexec_b64 s[28:29], s[56:57]
	s_xor_b64 s[28:29], exec, s[28:29]
	s_cbranch_execz .LBB4_794
; %bb.780:                              ;   in Loop: Header=BB4_750 Depth=3
	s_and_saveexec_b64 s[40:41], s[16:17]
	s_cbranch_execz .LBB4_793
; %bb.781:                              ;   in Loop: Header=BB4_750 Depth=3
	s_mov_b64 s[90:91], exec
	v_mbcnt_lo_u32_b32 v0, s90, 0
	v_mbcnt_hi_u32_b32 v0, s91, v0
	v_cmp_eq_u32_e32 vcc, 0, v0
	s_waitcnt vmcnt(0) lgkmcnt(0)
	buffer_wbinvl1_vol
	s_and_saveexec_b64 s[88:89], vcc
	s_cbranch_execz .LBB4_783
; %bb.782:                              ;   in Loop: Header=BB4_750 Depth=3
	s_bcnt1_i32_b64 s8, s[90:91]
	v_mov_b32_e32 v0, s8
	v_mov_b32_e32 v1, v34
	ds_add_u64 v0, v[0:1]
	s_trap 2
.LBB4_783:                              ;   in Loop: Header=BB4_750 Depth=3
	s_or_b64 exec, exec, s[88:89]
	s_trap 2
	ds_read_b64 v[0:1], v0
	s_waitcnt lgkmcnt(0)
	v_add_co_u32_e32 v28, vcc, v28, v39
	v_addc_co_u32_e32 v29, vcc, 0, v29, vcc
	v_cmp_lt_u64_e32 vcc, v[0:1], v[28:29]
	s_and_saveexec_b64 s[88:89], vcc
	s_cbranch_execz .LBB4_792
; %bb.784:                              ;   in Loop: Header=BB4_750 Depth=3
	s_mov_b32 s8, 0
	s_mov_b64 s[90:91], 0
                                        ; implicit-def: $sgpr92_sgpr93
                                        ; implicit-def: $sgpr94_sgpr95
	s_branch .LBB4_786
.LBB4_785:                              ;   in Loop: Header=BB4_786 Depth=4
	s_or_b64 exec, exec, s[34:35]
	s_and_b64 vcc, exec, vcc
	s_or_b64 s[90:91], vcc, s[90:91]
	s_andn2_b64 s[92:93], s[92:93], exec
	s_and_b64 vcc, s[94:95], exec
	s_or_b64 s[92:93], s[92:93], vcc
	s_andn2_b64 exec, exec, s[90:91]
	s_cbranch_execz .LBB4_790
.LBB4_786:                              ;   Parent Loop BB4_47 Depth=1
                                        ;     Parent Loop BB4_747 Depth=2
                                        ;       Parent Loop BB4_750 Depth=3
                                        ; =>      This Inner Loop Header: Depth=4
	s_add_i32 s8, s8, 1
	s_cmpk_lg_i32 s8, 0x2710
	s_cselect_b64 s[30:31], -1, 0
	s_and_b64 vcc, exec, s[30:31]
	s_cbranch_vccz .LBB4_788
; %bb.787:                              ;   in Loop: Header=BB4_786 Depth=4
	s_mov_b64 vcc, -1
	s_or_b64 s[94:95], s[94:95], exec
	s_and_saveexec_b64 s[34:35], s[30:31]
	s_cbranch_execz .LBB4_785
	s_branch .LBB4_789
.LBB4_788:                              ;   in Loop: Header=BB4_786 Depth=4
	s_trap 2
	ds_read_b64 v[0:1], v0
	s_andn2_b64 s[30:31], s[30:31], exec
	s_mov_b32 s8, 0
	s_waitcnt lgkmcnt(0)
	flat_load_dword v0, v[0:1] glc
	s_waitcnt vmcnt(0) lgkmcnt(0)
	buffer_wbinvl1_vol
	v_cmp_eq_u32_e32 vcc, 0, v0
	s_and_b64 vcc, vcc, exec
	s_or_b64 s[30:31], s[30:31], vcc
	s_mov_b64 vcc, -1
	s_or_b64 s[94:95], s[94:95], exec
	s_and_saveexec_b64 s[34:35], s[30:31]
	s_cbranch_execz .LBB4_785
.LBB4_789:                              ;   in Loop: Header=BB4_786 Depth=4
	s_sleep 1
	s_trap 2
	ds_read_b64 v[0:1], v0
	s_waitcnt lgkmcnt(0)
	s_andn2_b64 s[94:95], s[94:95], exec
	v_cmp_ge_u64_e32 vcc, v[0:1], v[28:29]
	s_orn2_b64 vcc, vcc, exec
	s_branch .LBB4_785
.LBB4_790:                              ;   in Loop: Header=BB4_750 Depth=3
	s_or_b64 exec, exec, s[90:91]
	s_and_saveexec_b64 s[90:91], s[92:93]
	s_xor_b64 s[90:91], exec, s[90:91]
	s_cbranch_execz .LBB4_792
; %bb.791:                              ;   in Loop: Header=BB4_750 Depth=3
	ds_write_b32 v0, v45
	s_trap 2
.LBB4_792:                              ;   in Loop: Header=BB4_750 Depth=3
	s_or_b64 exec, exec, s[88:89]
	;;#ASMSTART
	s_wakeup
	;;#ASMEND
.LBB4_793:                              ;   in Loop: Header=BB4_750 Depth=3
	s_or_b64 exec, exec, s[40:41]
.LBB4_794:                              ;   in Loop: Header=BB4_750 Depth=3
	s_andn2_saveexec_b64 s[28:29], s[28:29]
	s_cbranch_execz .LBB4_796
; %bb.795:                              ;   in Loop: Header=BB4_750 Depth=3
	s_waitcnt vmcnt(0) lgkmcnt(0)
	buffer_wbinvl1_vol
	s_barrier
.LBB4_796:                              ;   in Loop: Header=BB4_750 Depth=3
	s_or_b64 exec, exec, s[28:29]
.LBB4_797:                              ;   in Loop: Header=BB4_750 Depth=3
	s_or_b64 exec, exec, s[26:27]
	s_trap 2
	ds_read_b32 v0, v0
	v_and_b32_e32 v1, 0x4000, v59
	v_cmp_ne_u32_e32 vcc, 0, v1
	s_xor_b64 s[26:27], s[6:7], -1
	s_and_b64 s[28:29], s[26:27], vcc
	s_and_saveexec_b64 s[26:27], s[28:29]
	s_cbranch_execz .LBB4_816
; %bb.798:                              ;   in Loop: Header=BB4_750 Depth=3
	s_and_saveexec_b64 s[28:29], s[56:57]
	s_xor_b64 s[28:29], exec, s[28:29]
	s_cbranch_execz .LBB4_813
; %bb.799:                              ;   in Loop: Header=BB4_750 Depth=3
	s_and_saveexec_b64 s[40:41], s[16:17]
	s_cbranch_execz .LBB4_812
; %bb.800:                              ;   in Loop: Header=BB4_750 Depth=3
	s_mov_b64 s[90:91], exec
	v_mbcnt_lo_u32_b32 v1, s90, 0
	v_mbcnt_hi_u32_b32 v1, s91, v1
	v_cmp_eq_u32_e32 vcc, 0, v1
	s_waitcnt vmcnt(0) lgkmcnt(0)
	buffer_wbinvl1_vol
	s_and_saveexec_b64 s[88:89], vcc
	s_cbranch_execz .LBB4_802
; %bb.801:                              ;   in Loop: Header=BB4_750 Depth=3
	s_bcnt1_i32_b64 s8, s[90:91]
	v_mov_b32_e32 v4, s8
	v_mov_b32_e32 v5, v34
	ds_add_u64 v0, v[4:5]
	s_trap 2
.LBB4_802:                              ;   in Loop: Header=BB4_750 Depth=3
	s_or_b64 exec, exec, s[88:89]
	s_trap 2
	ds_read_b64 v[4:5], v0
	s_waitcnt lgkmcnt(0)
	v_add_co_u32_e32 v28, vcc, v28, v39
	v_addc_co_u32_e32 v29, vcc, 0, v29, vcc
	v_cmp_lt_u64_e32 vcc, v[4:5], v[28:29]
	s_and_saveexec_b64 s[88:89], vcc
	s_cbranch_execz .LBB4_811
; %bb.803:                              ;   in Loop: Header=BB4_750 Depth=3
	s_mov_b32 s8, 0
	s_mov_b64 s[90:91], 0
                                        ; implicit-def: $sgpr92_sgpr93
                                        ; implicit-def: $sgpr94_sgpr95
	s_branch .LBB4_805
.LBB4_804:                              ;   in Loop: Header=BB4_805 Depth=4
	s_or_b64 exec, exec, s[34:35]
	s_and_b64 vcc, exec, vcc
	s_or_b64 s[90:91], vcc, s[90:91]
	s_andn2_b64 s[92:93], s[92:93], exec
	s_and_b64 vcc, s[94:95], exec
	s_or_b64 s[92:93], s[92:93], vcc
	s_andn2_b64 exec, exec, s[90:91]
	s_cbranch_execz .LBB4_809
.LBB4_805:                              ;   Parent Loop BB4_47 Depth=1
                                        ;     Parent Loop BB4_747 Depth=2
                                        ;       Parent Loop BB4_750 Depth=3
                                        ; =>      This Inner Loop Header: Depth=4
	s_add_i32 s8, s8, 1
	s_cmpk_lg_i32 s8, 0x2710
	s_cselect_b64 s[30:31], -1, 0
	s_and_b64 vcc, exec, s[30:31]
	s_cbranch_vccz .LBB4_807
; %bb.806:                              ;   in Loop: Header=BB4_805 Depth=4
	s_mov_b64 vcc, -1
	s_or_b64 s[94:95], s[94:95], exec
	s_and_saveexec_b64 s[34:35], s[30:31]
	s_cbranch_execz .LBB4_804
	s_branch .LBB4_808
.LBB4_807:                              ;   in Loop: Header=BB4_805 Depth=4
	s_trap 2
	ds_read_b64 v[4:5], v0
	s_andn2_b64 s[30:31], s[30:31], exec
	s_mov_b32 s8, 0
	s_waitcnt lgkmcnt(0)
	flat_load_dword v1, v[4:5] glc
	s_waitcnt vmcnt(0) lgkmcnt(0)
	buffer_wbinvl1_vol
	v_cmp_eq_u32_e32 vcc, 0, v1
	s_and_b64 vcc, vcc, exec
	s_or_b64 s[30:31], s[30:31], vcc
	s_mov_b64 vcc, -1
	s_or_b64 s[94:95], s[94:95], exec
	s_and_saveexec_b64 s[34:35], s[30:31]
	s_cbranch_execz .LBB4_804
.LBB4_808:                              ;   in Loop: Header=BB4_805 Depth=4
	s_sleep 1
	s_trap 2
	ds_read_b64 v[4:5], v0
	s_waitcnt lgkmcnt(0)
	s_andn2_b64 s[94:95], s[94:95], exec
	v_cmp_ge_u64_e32 vcc, v[4:5], v[28:29]
	s_orn2_b64 vcc, vcc, exec
	s_branch .LBB4_804
.LBB4_809:                              ;   in Loop: Header=BB4_750 Depth=3
	s_or_b64 exec, exec, s[90:91]
	s_and_saveexec_b64 s[90:91], s[92:93]
	s_xor_b64 s[90:91], exec, s[90:91]
	s_cbranch_execz .LBB4_811
; %bb.810:                              ;   in Loop: Header=BB4_750 Depth=3
	ds_write_b32 v0, v45
	s_trap 2
.LBB4_811:                              ;   in Loop: Header=BB4_750 Depth=3
	s_or_b64 exec, exec, s[88:89]
	;;#ASMSTART
	s_wakeup
	;;#ASMEND
.LBB4_812:                              ;   in Loop: Header=BB4_750 Depth=3
	s_or_b64 exec, exec, s[40:41]
.LBB4_813:                              ;   in Loop: Header=BB4_750 Depth=3
	s_andn2_saveexec_b64 s[28:29], s[28:29]
	s_cbranch_execz .LBB4_815
; %bb.814:                              ;   in Loop: Header=BB4_750 Depth=3
	s_waitcnt vmcnt(0) lgkmcnt(0)
	buffer_wbinvl1_vol
	s_barrier
.LBB4_815:                              ;   in Loop: Header=BB4_750 Depth=3
	s_or_b64 exec, exec, s[28:29]
.LBB4_816:                              ;   in Loop: Header=BB4_750 Depth=3
	s_or_b64 exec, exec, s[26:27]
	s_trap 2
	s_waitcnt lgkmcnt(0)
	ds_read_b64 v[13:14], v0
	s_waitcnt lgkmcnt(0)
	v_cmp_eq_u64_e32 vcc, 0, v[13:14]
	s_cbranch_vccnz .LBB4_825
; %bb.817:                              ;   in Loop: Header=BB4_750 Depth=3
	s_trap 2
	ds_read_b64 v[52:53], v0
	s_waitcnt lgkmcnt(0)
	v_cmp_eq_u64_e32 vcc, 0, v[52:53]
	s_cbranch_vccnz .LBB4_825
; %bb.818:                              ;   in Loop: Header=BB4_750 Depth=3
	s_trap 2
	ds_read_b64 v[54:55], v0
	v_cmp_eq_u32_e64 s[26:27], 0, v0
	v_cndmask_b32_e64 v44, 0, v12, s[26:27]
	s_waitcnt lgkmcnt(0)
	v_cmp_ne_u64_e32 vcc, 0, v[54:55]
	s_cbranch_vccz .LBB4_830
; %bb.819:                              ;   in Loop: Header=BB4_750 Depth=3
	s_mov_b64 s[28:29], -1
	s_and_saveexec_b64 s[26:27], s[20:21]
	s_cbranch_execz .LBB4_821
; %bb.820:                              ;   in Loop: Header=BB4_750 Depth=3
	ds_read_b32 v0, v0 offset:720
	s_waitcnt lgkmcnt(0)
	v_and_b32_e32 v0, 15, v0
	v_cmp_eq_u32_e32 vcc, 0, v0
	s_orn2_b64 s[28:29], vcc, exec
.LBB4_821:                              ;   in Loop: Header=BB4_750 Depth=3
	s_or_b64 exec, exec, s[26:27]
	s_and_saveexec_b64 s[26:27], s[22:23]
	s_cbranch_execz .LBB4_823
; %bb.822:                              ;   in Loop: Header=BB4_750 Depth=3
	ds_read_b32 v0, v0 offset:784
	s_waitcnt lgkmcnt(0)
	v_and_b32_e32 v0, 15, v0
	v_cmp_eq_u32_e32 vcc, 0, v0
	s_and_b64 s[40:41], s[28:29], vcc
	s_andn2_b64 s[28:29], s[28:29], exec
	s_and_b64 s[40:41], s[40:41], exec
	s_or_b64 s[28:29], s[28:29], s[40:41]
.LBB4_823:                              ;   in Loop: Header=BB4_750 Depth=3
	s_or_b64 exec, exec, s[26:27]
	s_xor_b64 s[28:29], s[28:29], -1
	v_cndmask_b32_e64 v0, 0, 1, s[28:29]
	s_mov_b64 s[26:27], -1
	v_mov_b32_e32 v4, 0
	v_cmp_ne_u32_e32 vcc, 0, v0
	v_mov_b32_e32 v5, v44
	v_mov_b32_e32 v38, v60
	s_cbranch_vccz .LBB4_832
; %bb.824:                              ;   in Loop: Header=BB4_750 Depth=3
	s_and_saveexec_b64 s[40:41], s[26:27]
	s_cbranch_execnz .LBB4_845
	s_branch .LBB4_855
.LBB4_825:                              ;   in Loop: Header=BB4_750 Depth=3
	s_mov_b64 s[26:27], 0
	s_and_saveexec_b64 s[28:29], s[10:11]
	s_cbranch_execnz .LBB4_882
.LBB4_826:                              ;   in Loop: Header=BB4_750 Depth=3
	s_or_b64 exec, exec, s[28:29]
                                        ; implicit-def: $vgpr0
	s_and_saveexec_b64 s[28:29], s[24:25]
	s_xor_b64 s[28:29], exec, s[28:29]
	s_cbranch_execz .LBB4_900
.LBB4_827:                              ;   in Loop: Header=BB4_750 Depth=3
	v_and_b32_e32 v1, 16, v59
	v_cmp_ne_u32_e32 vcc, 0, v1
	v_and_b32_e32 v0, 16, v59
	s_and_b64 s[40:41], vcc, s[26:27]
	s_and_saveexec_b64 s[26:27], s[40:41]
	s_cbranch_execz .LBB4_829
; %bb.828:                              ;   in Loop: Header=BB4_750 Depth=3
	v_mov_b32_e32 v0, 1
	s_waitcnt vmcnt(0) lgkmcnt(0)
	buffer_wbinvl1_vol
.LBB4_829:                              ;   in Loop: Header=BB4_750 Depth=3
	s_or_b64 exec, exec, s[26:27]
	s_andn2_saveexec_b64 s[26:27], s[28:29]
	s_cbranch_execz .LBB4_919
	s_branch .LBB4_901
.LBB4_830:                              ;   in Loop: Header=BB4_750 Depth=3
	s_cbranch_execnz .LBB4_856
.LBB4_831:                              ;   in Loop: Header=BB4_750 Depth=3
	v_cmp_lt_i32_e64 s[26:27], 0, v44
	s_and_saveexec_b64 s[28:29], s[10:11]
	s_cbranch_execnz .LBB4_882
	s_branch .LBB4_826
.LBB4_832:                              ;   in Loop: Header=BB4_750 Depth=3
	buffer_load_dword v1, off, s[0:3], s33 offset:124 ; 4-byte Folded Reload
	v_ashrrev_i32_e32 v0, 31, v44
	v_lshrrev_b32_e32 v0, 21, v0
	v_add_u32_e32 v0, v44, v0
	v_ashrrev_i32_e32 v0, 11, v0
	s_waitcnt vmcnt(0)
	v_sub_u32_e32 v1, v0, v1
	v_cmp_lt_i32_e32 vcc, 0, v1
	s_and_saveexec_b64 s[26:27], vcc
	s_cbranch_execz .LBB4_836
; %bb.833:                              ;   in Loop: Header=BB4_750 Depth=3
	buffer_load_dword v2, off, s[0:3], s33 offset:180 ; 4-byte Folded Reload
	s_mov_b64 s[28:29], 0
	s_waitcnt vmcnt(0)
	v_add_co_u32_e32 v8, vcc, v13, v2
	v_addc_co_u32_e32 v9, vcc, 0, v14, vcc
	v_add_co_u32_e32 v10, vcc, v52, v2
	v_addc_co_u32_e32 v11, vcc, 0, v53, vcc
	;; [unrolled: 2-line block ×3, first 2 shown]
.LBB4_834:                              ;   Parent Loop BB4_47 Depth=1
                                        ;     Parent Loop BB4_747 Depth=2
                                        ;       Parent Loop BB4_750 Depth=3
                                        ; =>      This Inner Loop Header: Depth=4
	global_load_dwordx4 v[24:27], v[8:9], off glc slc
	global_load_dwordx4 v[35:38], v[8:9], off offset:1024 glc slc
	v_add_co_u32_e32 v8, vcc, v8, v30
	v_addc_co_u32_e32 v9, vcc, 0, v9, vcc
	v_sub_u32_e32 v1, v1, v39
	v_cmp_gt_i32_e32 vcc, 1, v1
	s_or_b64 s[28:29], vcc, s[28:29]
	s_waitcnt vmcnt(1)
	global_store_dwordx4 v[10:11], v[24:27], off glc slc
	s_waitcnt vmcnt(1)
	global_store_dwordx4 v[10:11], v[35:38], off offset:1024 glc slc
	global_store_dwordx4 v[40:41], v[24:27], off glc slc
	global_store_dwordx4 v[40:41], v[35:38], off offset:1024 glc slc
	v_add_co_u32_e32 v10, vcc, v10, v30
	v_addc_co_u32_e32 v11, vcc, 0, v11, vcc
	v_add_co_u32_e32 v40, vcc, v40, v30
	v_addc_co_u32_e32 v41, vcc, 0, v41, vcc
	s_andn2_b64 exec, exec, s[28:29]
	s_cbranch_execnz .LBB4_834
; %bb.835:                              ;   in Loop: Header=BB4_750 Depth=3
	s_or_b64 exec, exec, s[28:29]
	buffer_load_dword v16, off, s[0:3], s33 offset:92 ; 4-byte Folded Reload
	buffer_load_dword v17, off, s[0:3], s33 offset:96 ; 4-byte Folded Reload
	;; [unrolled: 1-line block ×8, first 2 shown]
.LBB4_836:                              ;   in Loop: Header=BB4_750 Depth=3
	s_or_b64 exec, exec, s[26:27]
	v_lshlrev_b32_e32 v0, 11, v0
	v_cmp_ne_u32_e32 vcc, v44, v0
	s_mov_b64 s[26:27], 0
	v_mov_b32_e32 v4, 0
                                        ; implicit-def: $vgpr5
                                        ; implicit-def: $vgpr38
	s_and_saveexec_b64 s[88:89], vcc
	s_cbranch_execz .LBB4_844
; %bb.837:                              ;   in Loop: Header=BB4_750 Depth=3
	buffer_load_dword v4, off, s[0:3], s33 offset:160 ; 4-byte Folded Reload
	v_lshlrev_b32_e32 v1, 6, v1
	v_sub_u32_e32 v2, v44, v0
	s_waitcnt vmcnt(0)
	v_sub_u32_e32 v1, v4, v1
	v_ashrrev_i32_e32 v4, 31, v1
	v_lshrrev_b32_e32 v4, 26, v4
	v_add_u32_e32 v4, v1, v4
	v_ashrrev_i32_e32 v6, 6, v4
	v_and_b32_e32 v4, 0xffffffc0, v4
	v_sub_u32_e32 v1, v1, v4
	v_lshlrev_b32_e32 v4, 4, v1
	v_lshl_add_u32 v8, v6, 10, v4
	v_ashrrev_i32_e32 v4, 31, v2
	v_lshrrev_b32_e32 v4, 22, v4
	v_add_u32_e32 v4, v2, v4
	v_ashrrev_i32_e32 v7, 10, v4
	v_and_b32_e32 v4, 0xfffffc00, v4
	v_sub_u32_e32 v5, v2, v4
	v_cmp_lt_i32_e64 s[26:27], 15, v5
	v_sub_u32_e32 v30, v2, v8
	v_addc_co_u32_e64 v2, vcc, 0, v7, s[26:27]
	v_sub_u32_e32 v19, v2, v6
	v_cmp_lt_i32_e32 vcc, 15, v30
	s_and_saveexec_b64 s[90:91], vcc
	s_cbranch_execz .LBB4_843
; %bb.838:                              ;   in Loop: Header=BB4_750 Depth=3
	v_add_u32_e32 v2, v8, v0
	v_ashrrev_i32_e32 v6, 31, v2
	v_add_co_u32_e32 v40, vcc, v2, v13
	v_addc_co_u32_e32 v41, vcc, v6, v14, vcc
	v_add_co_u32_e32 v31, vcc, v2, v52
	v_addc_co_u32_e32 v35, vcc, v6, v53, vcc
	;; [unrolled: 2-line block ×3, first 2 shown]
	s_mov_b64 s[92:93], 0
.LBB4_839:                              ;   Parent Loop BB4_47 Depth=1
                                        ;     Parent Loop BB4_747 Depth=2
                                        ;       Parent Loop BB4_750 Depth=3
                                        ; =>      This Loop Header: Depth=4
                                        ;           Child Loop BB4_840 Depth 5
	global_load_dwordx4 v[8:11], v[40:41], off glc slc
	s_mov_b64 s[94:95], -1
	s_mov_b64 s[30:31], 0
	s_waitcnt vmcnt(0)
.LBB4_840:                              ;   Parent Loop BB4_47 Depth=1
                                        ;     Parent Loop BB4_747 Depth=2
                                        ;       Parent Loop BB4_750 Depth=3
                                        ;         Parent Loop BB4_839 Depth=4
                                        ; =>        This Inner Loop Header: Depth=5
	s_cmp_eq_u32 s30, 1
	s_cselect_b64 s[28:29], -1, 0
	v_cndmask_b32_e64 v24, v31, v36, s[28:29]
	v_cndmask_b32_e64 v25, v35, v38, s[28:29]
	v_add_co_u32_e32 v2, vcc, 0x400, v24
	s_cmp_eq_u32 s30, 0
	v_addc_co_u32_e32 v6, vcc, 0, v25, vcc
	s_cselect_b64 vcc, -1, 0
	s_and_b64 s[40:41], exec, s[94:95]
	s_mov_b64 s[30:31], 1
	v_cndmask_b32_e64 v36, v36, v2, s[28:29]
	s_mov_b64 s[94:95], 0
	v_cndmask_b32_e64 v38, v38, v6, s[28:29]
	v_cndmask_b32_e32 v35, v35, v6, vcc
	v_cndmask_b32_e32 v31, v31, v2, vcc
	s_mov_b64 vcc, s[40:41]
	global_store_dwordx4 v[24:25], v[8:11], off glc slc
	s_cbranch_vccnz .LBB4_840
; %bb.841:                              ;   in Loop: Header=BB4_839 Depth=4
	buffer_load_dword v2, off, s[0:3], s33 offset:72 ; 4-byte Folded Reload
	v_add_co_u32_e32 v31, vcc, v31, v37
	v_sub_u32_e32 v30, v30, v51
	v_sub_u32_e32 v19, v19, v39
	s_waitcnt vmcnt(0)
	v_addc_co_u32_e32 v35, vcc, v35, v2, vcc
	v_add_co_u32_e32 v36, vcc, v36, v37
	v_addc_co_u32_e32 v38, vcc, v38, v2, vcc
	buffer_load_dword v2, off, s[0:3], s33 offset:76 ; 4-byte Folded Reload
	s_waitcnt vmcnt(0)
	v_add_co_u32_e32 v40, vcc, v2, v40
	buffer_load_dword v2, off, s[0:3], s33 offset:80 ; 4-byte Folded Reload
	s_waitcnt vmcnt(0)
	v_addc_co_u32_e32 v41, vcc, v2, v41, vcc
	v_cmp_gt_i32_e32 vcc, 16, v30
	s_or_b64 s[92:93], vcc, s[92:93]
	s_andn2_b64 exec, exec, s[92:93]
	s_cbranch_execnz .LBB4_839
; %bb.842:                              ;   in Loop: Header=BB4_750 Depth=3
	s_or_b64 exec, exec, s[92:93]
	buffer_load_dword v6, off, s[0:3], s33 offset:92 ; 4-byte Folded Reload
	buffer_load_dword v7, off, s[0:3], s33 offset:96 ; 4-byte Folded Reload
	;; [unrolled: 1-line block ×8, first 2 shown]
	s_waitcnt vmcnt(6)
	v_mov_b32_e32 v17, v7
	v_mov_b32_e32 v16, v6
.LBB4_843:                              ;   in Loop: Header=BB4_750 Depth=3
	s_or_b64 exec, exec, s[90:91]
	buffer_load_dword v30, off, s[0:3], s33 offset:68 ; 4-byte Folded Reload
	v_and_b32_e32 v2, 15, v44
	v_sub_u32_e32 v6, v5, v2
	v_cndmask_b32_e64 v6, 0, v6, s[26:27]
	v_cmp_lt_i32_e32 vcc, 0, v19
	v_add3_u32 v4, v4, v0, v6
	v_cndmask_b32_e64 v5, v5, v2, s[26:27]
	v_cndmask_b32_e32 v0, 0, v39, vcc
	v_sub_u32_e32 v0, v0, v19
	v_cmp_ne_u32_e32 vcc, 0, v5
	v_lshl_add_u32 v38, v0, 6, v1
	s_and_b64 s[26:27], vcc, exec
.LBB4_844:                              ;   in Loop: Header=BB4_750 Depth=3
	s_or_b64 exec, exec, s[88:89]
	s_and_saveexec_b64 s[40:41], s[26:27]
	s_cbranch_execz .LBB4_855
.LBB4_845:                              ;   in Loop: Header=BB4_750 Depth=3
	v_ashrrev_i32_e32 v0, 31, v38
	v_ashrrev_i32_e32 v1, 31, v5
	v_lshrrev_b32_e32 v0, 26, v0
	v_lshrrev_b32_e32 v1, 22, v1
	v_add_u32_e32 v0, v38, v0
	v_add_u32_e32 v1, v5, v1
	s_waitcnt vmcnt(0)
	v_ashrrev_i32_e32 v39, 6, v0
	s_waitcnt vmcnt(0)
	v_ashrrev_i32_e32 v40, 10, v1
	v_sub_u32_e32 v51, v40, v39
	v_cmp_lt_i32_e32 vcc, 0, v51
	s_and_saveexec_b64 s[26:27], vcc
	s_cbranch_execz .LBB4_849
; %bb.846:                              ;   in Loop: Header=BB4_750 Depth=3
	buffer_load_dword v7, off, s[0:3], s33 offset:56 ; 4-byte Folded Reload
	buffer_load_dword v16, off, s[0:3], s33 offset:60 ; 4-byte Folded Reload
	v_and_b32_e32 v0, 0xffffffc0, v0
	v_sub_u32_e32 v0, v38, v0
	v_lshlrev_b32_e32 v1, 10, v39
	v_add3_u32 v0, v4, v0, v1
	v_ashrrev_i32_e32 v1, 31, v0
	v_add_co_u32_e32 v8, vcc, v0, v52
	v_addc_co_u32_e32 v9, vcc, v1, v53, vcc
	v_add_co_u32_e32 v10, vcc, v0, v54
	v_addc_co_u32_e32 v11, vcc, v1, v55, vcc
	;; [unrolled: 2-line block ×4, first 2 shown]
	s_mov_b64 s[28:29], 0
.LBB4_847:                              ;   Parent Loop BB4_47 Depth=1
                                        ;     Parent Loop BB4_747 Depth=2
                                        ;       Parent Loop BB4_750 Depth=3
                                        ; =>      This Inner Loop Header: Depth=4
	v_add_co_u32_e32 v0, vcc, 0xfffffc40, v54
	v_addc_co_u32_e32 v1, vcc, -1, v55, vcc
	v_add_co_u32_e32 v24, vcc, 0xfffffc80, v54
	v_addc_co_u32_e32 v25, vcc, -1, v55, vcc
	flat_load_ubyte v0, v[0:1] glc slc
	s_waitcnt vmcnt(0)
	v_sub_u32_e32 v51, v51, v7
	flat_load_ubyte v1, v[24:25] glc slc
	v_add_co_u32_e32 v24, vcc, 0xfffffcc0, v54
	v_addc_co_u32_e32 v25, vcc, -1, v55, vcc
	flat_load_ubyte v19, v[24:25] glc slc
	v_add_co_u32_e32 v24, vcc, 0xfffffd00, v54
	v_addc_co_u32_e32 v25, vcc, -1, v55, vcc
	;; [unrolled: 3-line block ×13, first 2 shown]
	flat_load_ubyte v2, v[24:25] glc slc
	flat_load_ubyte v6, v[54:55] glc slc
	s_waitcnt lgkmcnt(0)
	flat_store_byte v[8:9], v0 glc slc
	s_waitcnt vmcnt(0)
	flat_store_byte v[8:9], v1 offset:64 glc slc
	flat_store_byte v[8:9], v19 offset:128 glc slc
	flat_store_byte v[8:9], v30 offset:192 glc slc
	flat_store_byte v[8:9], v31 offset:256 glc slc
	flat_store_byte v[8:9], v35 offset:320 glc slc
	flat_store_byte v[8:9], v36 offset:384 glc slc
	flat_store_byte v[8:9], v50 offset:448 glc slc
	flat_store_byte v[8:9], v41 offset:512 glc slc
	flat_store_byte v[8:9], v45 offset:576 glc slc
	flat_store_byte v[8:9], v46 offset:640 glc slc
	flat_store_byte v[8:9], v47 offset:704 glc slc
	flat_store_byte v[8:9], v56 offset:768 glc slc
	flat_store_byte v[8:9], v57 offset:832 glc slc
	flat_store_byte v[8:9], v2 offset:896 glc slc
	flat_store_byte v[8:9], v6 offset:960 glc slc
	flat_store_byte v[10:11], v0 glc slc
	flat_store_byte v[10:11], v1 offset:64 glc slc
	flat_store_byte v[10:11], v19 offset:128 glc slc
	flat_store_byte v[10:11], v30 offset:192 glc slc
	flat_store_byte v[10:11], v31 offset:256 glc slc
	flat_store_byte v[10:11], v35 offset:320 glc slc
	flat_store_byte v[10:11], v36 offset:384 glc slc
	flat_store_byte v[10:11], v50 offset:448 glc slc
	flat_store_byte v[10:11], v41 offset:512 glc slc
	flat_store_byte v[10:11], v45 offset:576 glc slc
	flat_store_byte v[10:11], v46 offset:640 glc slc
	flat_store_byte v[10:11], v47 offset:704 glc slc
	flat_store_byte v[10:11], v56 offset:768 glc slc
	flat_store_byte v[10:11], v57 offset:832 glc slc
	flat_store_byte v[10:11], v2 offset:896 glc slc
	flat_store_byte v[10:11], v6 offset:960 glc slc
	v_add_co_u32_e32 v8, vcc, v8, v16
	v_addc_co_u32_e32 v9, vcc, 0, v9, vcc
	v_add_co_u32_e32 v10, vcc, v10, v16
	v_addc_co_u32_e32 v11, vcc, 0, v11, vcc
	;; [unrolled: 2-line block ×3, first 2 shown]
	v_cmp_gt_i32_e32 vcc, 1, v51
	s_or_b64 s[28:29], vcc, s[28:29]
	s_andn2_b64 exec, exec, s[28:29]
	s_cbranch_execnz .LBB4_847
; %bb.848:                              ;   in Loop: Header=BB4_750 Depth=3
	s_or_b64 exec, exec, s[28:29]
	buffer_load_dword v16, off, s[0:3], s33 offset:92 ; 4-byte Folded Reload
	buffer_load_dword v17, off, s[0:3], s33 offset:96 ; 4-byte Folded Reload
	;; [unrolled: 1-line block ×12, first 2 shown]
	v_mov_b32_e32 v45, 1
.LBB4_849:                              ;   in Loop: Header=BB4_750 Depth=3
	s_or_b64 exec, exec, s[26:27]
	v_lshlrev_b32_e32 v0, 10, v40
	buffer_load_dword v40, off, s[0:3], s33 offset:112 ; 4-byte Folded Reload
	v_cmp_ne_u32_e32 vcc, v5, v0
	s_and_b64 s[26:27], exec, vcc
	s_mov_b64 exec, s[26:27]
	s_cbranch_execz .LBB4_855
; %bb.850:                              ;   in Loop: Header=BB4_750 Depth=3
	v_lshlrev_b32_e32 v1, 6, v39
	v_sub_u32_e32 v1, v38, v1
	v_lshlrev_b32_e32 v2, 6, v51
	v_sub_u32_e32 v1, v1, v2
	v_add_u32_e32 v1, v0, v1
	v_sub_u32_e32 v0, v5, v1
	v_cmp_lt_i32_e32 vcc, 0, v0
	s_and_b64 exec, exec, vcc
	s_cbranch_execz .LBB4_855
; %bb.851:                              ;   in Loop: Header=BB4_750 Depth=3
	v_add_u32_e32 v2, v1, v4
	s_trap 2
	ds_read_b64 v[4:5], v0
	ds_read_b128 v[24:27], v0
	v_ashrrev_i32_e32 v6, 31, v2
	s_mov_b64 s[88:89], 0
	s_waitcnt lgkmcnt(0)
	v_add_co_u32_e32 v8, vcc, v4, v2
	v_addc_co_u32_e32 v9, vcc, v5, v6, vcc
	v_add_co_u32_e32 v1, vcc, v24, v2
	v_addc_co_u32_e32 v4, vcc, v25, v6, vcc
	;; [unrolled: 2-line block ×3, first 2 shown]
.LBB4_852:                              ;   Parent Loop BB4_47 Depth=1
                                        ;     Parent Loop BB4_747 Depth=2
                                        ;       Parent Loop BB4_750 Depth=3
                                        ; =>      This Loop Header: Depth=4
                                        ;           Child Loop BB4_853 Depth 5
	flat_load_ubyte v11, v[8:9] glc slc
	s_mov_b64 s[90:91], -1
	s_mov_b64 s[92:93], 0
	s_waitcnt vmcnt(0)
.LBB4_853:                              ;   Parent Loop BB4_47 Depth=1
                                        ;     Parent Loop BB4_747 Depth=2
                                        ;       Parent Loop BB4_750 Depth=3
                                        ;         Parent Loop BB4_852 Depth=4
                                        ; =>        This Inner Loop Header: Depth=5
	s_cmp_eq_u32 s92, 1
	s_cselect_b64 vcc, -1, 0
	v_cndmask_b32_e32 v24, v1, v5, vcc
	v_cndmask_b32_e32 v25, v4, v10, vcc
	v_add_co_u32_e64 v2, s[26:27], 64, v24
	s_cmp_eq_u32 s92, 0
	v_addc_co_u32_e64 v6, s[26:27], 0, v25, s[26:27]
	s_cselect_b64 s[26:27], -1, 0
	s_and_b64 s[28:29], exec, s[90:91]
	s_mov_b64 s[92:93], 1
	s_mov_b64 s[90:91], 0
	v_cndmask_b32_e32 v10, v10, v6, vcc
	v_cndmask_b32_e32 v5, v5, v2, vcc
	v_cndmask_b32_e64 v4, v4, v6, s[26:27]
	v_cndmask_b32_e64 v1, v1, v2, s[26:27]
	s_mov_b64 vcc, s[28:29]
	s_waitcnt lgkmcnt(0)
	flat_store_byte v[24:25], v11 glc slc
	s_cbranch_vccnz .LBB4_853
; %bb.854:                              ;   in Loop: Header=BB4_852 Depth=4
	buffer_load_dword v2, off, s[0:3], s33 offset:64 ; 4-byte Folded Reload
	v_add_co_u32_e32 v1, vcc, v1, v41
	v_addc_co_u32_e32 v4, vcc, v4, v40, vcc
	v_add_co_u32_e32 v5, vcc, v5, v41
	v_addc_co_u32_e32 v10, vcc, v10, v40, vcc
	v_sub_u32_e32 v0, v0, v31
	v_cmp_gt_i32_e32 vcc, 1, v0
	s_or_b64 s[88:89], vcc, s[88:89]
	v_add_co_u32_e32 v8, vcc, v36, v8
	s_waitcnt vmcnt(0)
	v_addc_co_u32_e32 v9, vcc, v2, v9, vcc
	s_andn2_b64 exec, exec, s[88:89]
	s_cbranch_execnz .LBB4_852
.LBB4_855:                              ;   in Loop: Header=BB4_750 Depth=3
	s_or_b64 exec, exec, s[40:41]
	buffer_load_dword v39, off, s[0:3], s33 offset:56 ; 4-byte Folded Reload
	buffer_load_dword v51, off, s[0:3], s33 offset:60 ; 4-byte Folded Reload
	s_branch .LBB4_831
.LBB4_856:                              ;   in Loop: Header=BB4_750 Depth=3
	s_mov_b64 s[26:27], -1
	s_and_saveexec_b64 s[28:29], s[20:21]
	s_cbranch_execz .LBB4_858
; %bb.857:                              ;   in Loop: Header=BB4_750 Depth=3
	ds_read_b32 v0, v0 offset:720
	s_waitcnt lgkmcnt(0)
	v_and_b32_e32 v0, 15, v0
	v_cmp_eq_u32_e32 vcc, 0, v0
	s_orn2_b64 s[26:27], vcc, exec
.LBB4_858:                              ;   in Loop: Header=BB4_750 Depth=3
	s_or_b64 exec, exec, s[28:29]
	s_mov_b64 s[28:29], exec
	buffer_load_dword v2, off, s[0:3], s33 offset:148 ; 4-byte Folded Reload
	s_and_b64 s[40:41], s[28:29], s[18:19]
	s_mov_b64 exec, s[40:41]
	s_cbranch_execz .LBB4_860
; %bb.859:                              ;   in Loop: Header=BB4_750 Depth=3
	ds_read_b32 v0, v0 offset:784
	s_waitcnt lgkmcnt(0)
	v_and_b32_e32 v0, 15, v0
	v_cmp_eq_u32_e32 vcc, 0, v0
	s_and_b64 s[40:41], s[26:27], vcc
	s_andn2_b64 s[26:27], s[26:27], exec
	s_and_b64 s[40:41], s[40:41], exec
	s_or_b64 s[26:27], s[26:27], s[40:41]
.LBB4_860:                              ;   in Loop: Header=BB4_750 Depth=3
	s_or_b64 exec, exec, s[28:29]
	s_xor_b64 s[26:27], s[26:27], -1
	v_cndmask_b32_e64 v1, 0, 1, s[26:27]
	s_mov_b64 s[40:41], -1
	v_mov_b32_e32 v0, 0
	v_cmp_ne_u32_e32 vcc, 0, v1
	v_mov_b32_e32 v1, v44
	v_mov_b32_e32 v4, v60
	s_cbranch_vccz .LBB4_862
; %bb.861:                              ;   in Loop: Header=BB4_750 Depth=3
	s_and_saveexec_b64 s[26:27], s[40:41]
	s_cbranch_execnz .LBB4_873
	s_branch .LBB4_881
.LBB4_862:                              ;   in Loop: Header=BB4_750 Depth=3
	buffer_load_dword v1, off, s[0:3], s33 offset:124 ; 4-byte Folded Reload
	v_ashrrev_i32_e32 v0, 31, v44
	v_lshrrev_b32_e32 v0, 20, v0
	v_add_u32_e32 v0, v44, v0
	v_ashrrev_i32_e32 v0, 12, v0
	s_waitcnt vmcnt(0)
	v_sub_u32_e32 v19, v0, v1
	v_cmp_lt_i32_e32 vcc, 0, v19
	s_and_saveexec_b64 s[26:27], vcc
	s_cbranch_execz .LBB4_866
; %bb.863:                              ;   in Loop: Header=BB4_750 Depth=3
	buffer_load_dword v1, off, s[0:3], s33 offset:196 ; 4-byte Folded Reload
	v_mov_b32_e32 v8, v52
	v_mov_b32_e32 v10, v13
	s_mov_b64 s[28:29], 0
	v_mov_b32_e32 v9, v53
	v_mov_b32_e32 v11, v14
.LBB4_864:                              ;   Parent Loop BB4_47 Depth=1
                                        ;     Parent Loop BB4_747 Depth=2
                                        ;       Parent Loop BB4_750 Depth=3
                                        ; =>      This Inner Loop Header: Depth=4
	v_add_co_u32_e32 v4, vcc, v2, v10
	v_addc_co_u32_e32 v5, vcc, 0, v11, vcc
	global_load_dwordx4 v[24:27], v[4:5], off glc slc
	global_load_dwordx4 v[35:38], v[4:5], off offset:1024 glc slc
	global_load_dwordx4 v[48:51], v[4:5], off offset:2048 glc slc
	;; [unrolled: 1-line block ×3, first 2 shown]
	v_add_co_u32_e32 v4, vcc, v2, v8
	v_addc_co_u32_e32 v5, vcc, 0, v9, vcc
	s_waitcnt vmcnt(0)
	v_add_co_u32_e32 v10, vcc, v10, v1
	v_addc_co_u32_e32 v11, vcc, 0, v11, vcc
	v_add_co_u32_e32 v8, vcc, v8, v1
	v_sub_u32_e32 v19, v19, v39
	v_addc_co_u32_e32 v9, vcc, 0, v9, vcc
	v_cmp_gt_i32_e32 vcc, 1, v19
	s_or_b64 s[28:29], vcc, s[28:29]
	global_store_dwordx4 v[4:5], v[24:27], off glc slc
	global_store_dwordx4 v[4:5], v[35:38], off offset:1024 glc slc
	global_store_dwordx4 v[4:5], v[48:51], off offset:2048 glc slc
	;; [unrolled: 1-line block ×3, first 2 shown]
	s_andn2_b64 exec, exec, s[28:29]
	s_cbranch_execnz .LBB4_864
; %bb.865:                              ;   in Loop: Header=BB4_750 Depth=3
	s_or_b64 exec, exec, s[28:29]
	buffer_load_dword v4, off, s[0:3], s33 offset:92 ; 4-byte Folded Reload
	buffer_load_dword v5, off, s[0:3], s33 offset:96 ; 4-byte Folded Reload
	;; [unrolled: 1-line block ×9, first 2 shown]
	s_waitcnt vmcnt(0)
	v_mov_b32_e32 v17, v5
	v_mov_b32_e32 v16, v4
.LBB4_866:                              ;   in Loop: Header=BB4_750 Depth=3
	s_or_b64 exec, exec, s[26:27]
	v_lshlrev_b32_e32 v5, 12, v0
	v_cmp_ne_u32_e32 vcc, v44, v5
	s_mov_b64 s[40:41], 0
	v_mov_b32_e32 v0, 0
                                        ; implicit-def: $vgpr1
                                        ; implicit-def: $vgpr4
	s_and_saveexec_b64 s[28:29], vcc
	s_cbranch_execz .LBB4_872
; %bb.867:                              ;   in Loop: Header=BB4_750 Depth=3
	buffer_load_dword v2, off, s[0:3], s33 offset:160 ; 4-byte Folded Reload
	v_lshlrev_b32_e32 v0, 6, v19
	v_sub_u32_e32 v1, v44, v5
	s_waitcnt vmcnt(0)
	v_sub_u32_e32 v0, v2, v0
	v_ashrrev_i32_e32 v2, 31, v0
	v_lshrrev_b32_e32 v2, 26, v2
	v_add_u32_e32 v2, v0, v2
	v_ashrrev_i32_e32 v6, 6, v2
	v_and_b32_e32 v2, 0xffffffc0, v2
	v_sub_u32_e32 v4, v0, v2
	v_lshlrev_b32_e32 v0, 4, v4
	v_lshl_add_u32 v10, v6, 10, v0
	v_ashrrev_i32_e32 v0, 31, v1
	v_lshrrev_b32_e32 v0, 22, v0
	v_add_u32_e32 v0, v1, v0
	v_ashrrev_i32_e32 v2, 10, v0
	v_and_b32_e32 v0, 0xfffffc00, v0
	v_sub_u32_e32 v9, v1, v10
	v_sub_u32_e32 v1, v1, v0
	v_cmp_lt_i32_e32 vcc, 15, v1
	v_addc_co_u32_e64 v2, s[26:27], 0, v2, vcc
	v_sub_u32_e32 v8, v2, v6
	v_cmp_lt_i32_e64 s[26:27], 15, v9
	s_and_saveexec_b64 s[40:41], s[26:27]
	s_cbranch_execz .LBB4_871
; %bb.868:                              ;   in Loop: Header=BB4_750 Depth=3
	v_add_u32_e32 v10, v10, v5
	v_ashrrev_i32_e32 v11, 31, v10
	s_mov_b64 s[88:89], 0
.LBB4_869:                              ;   Parent Loop BB4_47 Depth=1
                                        ;     Parent Loop BB4_747 Depth=2
                                        ;       Parent Loop BB4_750 Depth=3
                                        ; =>      This Inner Loop Header: Depth=4
	v_add_co_u32_e64 v24, s[26:27], v13, v10
	v_addc_co_u32_e64 v25, s[26:27], v14, v11, s[26:27]
	global_load_dwordx4 v[24:27], v[24:25], off glc slc
	v_add_co_u32_e64 v30, s[26:27], v52, v10
	v_addc_co_u32_e64 v31, s[26:27], v53, v11, s[26:27]
	v_add_co_u32_e64 v10, s[26:27], v10, v51
	v_sub_u32_e32 v9, v9, v51
	v_addc_co_u32_e64 v11, s[26:27], 0, v11, s[26:27]
	v_cmp_gt_i32_e64 s[26:27], 16, v9
	v_sub_u32_e32 v8, v8, v39
	s_or_b64 s[88:89], s[26:27], s[88:89]
	s_waitcnt vmcnt(0)
	global_store_dwordx4 v[30:31], v[24:27], off glc slc
	s_andn2_b64 exec, exec, s[88:89]
	s_cbranch_execnz .LBB4_869
; %bb.870:                              ;   in Loop: Header=BB4_750 Depth=3
	s_or_b64 exec, exec, s[88:89]
	buffer_load_dword v31, off, s[0:3], s33 offset:128 ; 4-byte Folded Reload
	buffer_load_dword v30, off, s[0:3], s33 offset:68 ; 4-byte Folded Reload
.LBB4_871:                              ;   in Loop: Header=BB4_750 Depth=3
	s_or_b64 exec, exec, s[40:41]
	v_and_b32_e32 v2, 15, v44
	v_sub_u32_e32 v6, v1, v2
	v_cndmask_b32_e32 v6, 0, v6, vcc
	v_cndmask_b32_e32 v1, v1, v2, vcc
	v_cmp_lt_i32_e32 vcc, 0, v8
	v_cndmask_b32_e32 v2, 0, v39, vcc
	v_sub_u32_e32 v2, v2, v8
	v_cmp_ne_u32_e32 vcc, 0, v1
	v_add3_u32 v0, v0, v5, v6
	v_lshl_add_u32 v4, v2, 6, v4
	s_and_b64 s[40:41], vcc, exec
.LBB4_872:                              ;   in Loop: Header=BB4_750 Depth=3
	s_or_b64 exec, exec, s[28:29]
	s_and_saveexec_b64 s[26:27], s[40:41]
	s_cbranch_execz .LBB4_881
.LBB4_873:                              ;   in Loop: Header=BB4_750 Depth=3
	s_waitcnt vmcnt(0)
	v_ashrrev_i32_e32 v2, 31, v4
	v_lshrrev_b32_e32 v2, 26, v2
	v_add_u32_e32 v10, v4, v2
	v_ashrrev_i32_e32 v2, 31, v1
	v_lshrrev_b32_e32 v2, 22, v2
	v_add_u32_e32 v2, v1, v2
	v_ashrrev_i32_e32 v5, 6, v10
	v_ashrrev_i32_e32 v9, 10, v2
	v_sub_u32_e32 v8, v9, v5
	v_cmp_lt_i32_e32 vcc, 0, v8
	s_and_saveexec_b64 s[28:29], vcc
	s_cbranch_execz .LBB4_877
; %bb.874:                              ;   in Loop: Header=BB4_750 Depth=3
	v_and_b32_e32 v2, 0xffffffc0, v10
	v_sub_u32_e32 v2, v4, v2
	v_lshlrev_b32_e32 v6, 10, v5
	v_add3_u32 v10, v0, v2, v6
	v_mov_b32_e32 v48, v34
	v_ashrrev_i32_e32 v11, 31, v10
	s_mov_b64 s[40:41], 0
.LBB4_875:                              ;   Parent Loop BB4_47 Depth=1
                                        ;     Parent Loop BB4_747 Depth=2
                                        ;       Parent Loop BB4_750 Depth=3
                                        ; =>      This Inner Loop Header: Depth=4
	v_add_co_u32_e32 v24, vcc, v10, v13
	v_addc_co_u32_e32 v25, vcc, v11, v14, vcc
	flat_load_ubyte v2, v[24:25] glc slc
	flat_load_ubyte v6, v[24:25] offset:64 glc slc
	flat_load_ubyte v7, v[24:25] offset:128 glc slc
	;; [unrolled: 1-line block ×15, first 2 shown]
	v_add_co_u32_e32 v24, vcc, v10, v52
	v_addc_co_u32_e32 v25, vcc, v11, v53, vcc
	v_add_co_u32_e32 v13, vcc, v13, v51
	v_addc_co_u32_e32 v14, vcc, 0, v14, vcc
	v_add_co_u32_e32 v52, vcc, v52, v51
	v_sub_u32_e32 v8, v8, v39
	v_addc_co_u32_e32 v53, vcc, 0, v53, vcc
	v_cmp_gt_i32_e32 vcc, 1, v8
	s_or_b64 s[40:41], vcc, s[40:41]
	s_waitcnt vmcnt(0) lgkmcnt(0)
	flat_store_byte v[24:25], v2 glc slc
	flat_store_byte v[24:25], v6 offset:64 glc slc
	flat_store_byte v[24:25], v7 offset:128 glc slc
	;; [unrolled: 1-line block ×15, first 2 shown]
	s_andn2_b64 exec, exec, s[40:41]
	s_cbranch_execnz .LBB4_875
; %bb.876:                              ;   in Loop: Header=BB4_750 Depth=3
	s_or_b64 exec, exec, s[40:41]
	buffer_load_dword v16, off, s[0:3], s33 offset:92 ; 4-byte Folded Reload
	buffer_load_dword v17, off, s[0:3], s33 offset:96 ; 4-byte Folded Reload
	;; [unrolled: 1-line block ×8, first 2 shown]
	v_mov_b32_e32 v34, v48
.LBB4_877:                              ;   in Loop: Header=BB4_750 Depth=3
	s_or_b64 exec, exec, s[28:29]
	v_lshlrev_b32_e32 v9, 10, v9
	v_cmp_ne_u32_e32 vcc, v1, v9
	s_and_b64 exec, exec, vcc
	s_cbranch_execz .LBB4_881
; %bb.878:                              ;   in Loop: Header=BB4_750 Depth=3
	v_lshlrev_b32_e32 v2, 6, v5
	v_sub_u32_e32 v2, v4, v2
	v_lshlrev_b32_e32 v4, 6, v8
	v_sub_u32_e32 v2, v2, v4
	v_add_u32_e32 v4, v9, v2
	v_sub_u32_e32 v1, v1, v4
	v_cmp_lt_i32_e32 vcc, 0, v1
	s_and_b64 exec, exec, vcc
	s_cbranch_execz .LBB4_881
; %bb.879:                              ;   in Loop: Header=BB4_750 Depth=3
	v_add_u32_e32 v0, v4, v0
	s_trap 2
	ds_read_b64 v[8:9], v0
	v_ashrrev_i32_e32 v4, 31, v0
	s_mov_b64 s[28:29], 0
.LBB4_880:                              ;   Parent Loop BB4_47 Depth=1
                                        ;     Parent Loop BB4_747 Depth=2
                                        ;       Parent Loop BB4_750 Depth=3
                                        ; =>      This Inner Loop Header: Depth=4
	s_waitcnt lgkmcnt(0)
	v_add_co_u32_e32 v5, vcc, v8, v0
	v_addc_co_u32_e32 v6, vcc, v9, v4, vcc
	flat_load_ubyte v2, v[5:6] glc slc
	s_waitcnt vmcnt(0)
	v_add_co_u32_e32 v0, vcc, v0, v31
	v_sub_u32_e32 v1, v1, v31
	v_addc_co_u32_e32 v4, vcc, 0, v4, vcc
	v_cmp_gt_i32_e32 vcc, 1, v1
	s_or_b64 s[28:29], vcc, s[28:29]
	s_waitcnt lgkmcnt(0)
	flat_store_byte v[5:6], v2 glc slc
	s_andn2_b64 exec, exec, s[28:29]
	s_cbranch_execnz .LBB4_880
.LBB4_881:                              ;   in Loop: Header=BB4_750 Depth=3
	s_or_b64 exec, exec, s[26:27]
	v_cmp_lt_i32_e64 s[26:27], 0, v44
	s_and_saveexec_b64 s[28:29], s[10:11]
	s_cbranch_execz .LBB4_826
.LBB4_882:                              ;   in Loop: Header=BB4_750 Depth=3
	s_and_saveexec_b64 s[40:41], s[56:57]
	s_xor_b64 s[40:41], exec, s[40:41]
	s_cbranch_execz .LBB4_897
; %bb.883:                              ;   in Loop: Header=BB4_750 Depth=3
	s_and_saveexec_b64 s[88:89], s[16:17]
	s_cbranch_execz .LBB4_896
; %bb.884:                              ;   in Loop: Header=BB4_750 Depth=3
	s_mov_b64 s[92:93], exec
	v_mbcnt_lo_u32_b32 v0, s92, 0
	v_mbcnt_hi_u32_b32 v0, s93, v0
	v_cmp_eq_u32_e32 vcc, 0, v0
	s_waitcnt vmcnt(0) lgkmcnt(0)
	buffer_wbinvl1_vol
	s_and_saveexec_b64 s[90:91], vcc
	s_cbranch_execz .LBB4_886
; %bb.885:                              ;   in Loop: Header=BB4_750 Depth=3
	s_bcnt1_i32_b64 s8, s[92:93]
	v_mov_b32_e32 v0, s8
	v_mov_b32_e32 v1, v34
	ds_add_u64 v0, v[0:1]
	s_trap 2
.LBB4_886:                              ;   in Loop: Header=BB4_750 Depth=3
	s_or_b64 exec, exec, s[90:91]
	s_trap 2
	ds_read_b64 v[0:1], v0
	s_waitcnt lgkmcnt(0)
	v_add_co_u32_e32 v28, vcc, v28, v39
	v_addc_co_u32_e32 v29, vcc, 0, v29, vcc
	v_cmp_lt_u64_e32 vcc, v[0:1], v[28:29]
	s_and_saveexec_b64 s[90:91], vcc
	s_cbranch_execz .LBB4_895
; %bb.887:                              ;   in Loop: Header=BB4_750 Depth=3
	s_mov_b32 s8, 0
	s_mov_b64 s[92:93], 0
                                        ; implicit-def: $sgpr94_sgpr95
                                        ; implicit-def: $sgpr30_sgpr31
	s_branch .LBB4_889
.LBB4_888:                              ;   in Loop: Header=BB4_889 Depth=4
	s_or_b64 exec, exec, s[36:37]
	s_and_b64 vcc, exec, vcc
	s_or_b64 s[92:93], vcc, s[92:93]
	s_andn2_b64 s[94:95], s[94:95], exec
	s_and_b64 vcc, s[30:31], exec
	s_or_b64 s[94:95], s[94:95], vcc
	s_andn2_b64 exec, exec, s[92:93]
	s_cbranch_execz .LBB4_893
.LBB4_889:                              ;   Parent Loop BB4_47 Depth=1
                                        ;     Parent Loop BB4_747 Depth=2
                                        ;       Parent Loop BB4_750 Depth=3
                                        ; =>      This Inner Loop Header: Depth=4
	s_add_i32 s8, s8, 1
	s_cmpk_lg_i32 s8, 0x2710
	s_cselect_b64 s[34:35], -1, 0
	s_and_b64 vcc, exec, s[34:35]
	s_cbranch_vccz .LBB4_891
; %bb.890:                              ;   in Loop: Header=BB4_889 Depth=4
	s_mov_b64 vcc, -1
	s_or_b64 s[30:31], s[30:31], exec
	s_and_saveexec_b64 s[36:37], s[34:35]
	s_cbranch_execz .LBB4_888
	s_branch .LBB4_892
.LBB4_891:                              ;   in Loop: Header=BB4_889 Depth=4
	s_trap 2
	ds_read_b64 v[0:1], v0
	s_andn2_b64 s[34:35], s[34:35], exec
	s_mov_b32 s8, 0
	s_waitcnt lgkmcnt(0)
	flat_load_dword v0, v[0:1] glc
	s_waitcnt vmcnt(0) lgkmcnt(0)
	buffer_wbinvl1_vol
	v_cmp_eq_u32_e32 vcc, 0, v0
	s_and_b64 vcc, vcc, exec
	s_or_b64 s[34:35], s[34:35], vcc
	s_mov_b64 vcc, -1
	s_or_b64 s[30:31], s[30:31], exec
	s_and_saveexec_b64 s[36:37], s[34:35]
	s_cbranch_execz .LBB4_888
.LBB4_892:                              ;   in Loop: Header=BB4_889 Depth=4
	s_sleep 1
	s_trap 2
	ds_read_b64 v[0:1], v0
	s_waitcnt lgkmcnt(0)
	s_andn2_b64 s[30:31], s[30:31], exec
	v_cmp_ge_u64_e32 vcc, v[0:1], v[28:29]
	s_orn2_b64 vcc, vcc, exec
	s_branch .LBB4_888
.LBB4_893:                              ;   in Loop: Header=BB4_750 Depth=3
	s_or_b64 exec, exec, s[92:93]
	s_and_saveexec_b64 s[92:93], s[94:95]
	s_xor_b64 s[92:93], exec, s[92:93]
	s_cbranch_execz .LBB4_895
; %bb.894:                              ;   in Loop: Header=BB4_750 Depth=3
	ds_write_b32 v0, v45
	s_trap 2
.LBB4_895:                              ;   in Loop: Header=BB4_750 Depth=3
	s_or_b64 exec, exec, s[90:91]
	;;#ASMSTART
	s_wakeup
	;;#ASMEND
.LBB4_896:                              ;   in Loop: Header=BB4_750 Depth=3
	s_or_b64 exec, exec, s[88:89]
.LBB4_897:                              ;   in Loop: Header=BB4_750 Depth=3
	s_andn2_saveexec_b64 s[40:41], s[40:41]
	s_cbranch_execz .LBB4_899
; %bb.898:                              ;   in Loop: Header=BB4_750 Depth=3
	s_waitcnt vmcnt(0) lgkmcnt(0)
	buffer_wbinvl1_vol
	s_barrier
.LBB4_899:                              ;   in Loop: Header=BB4_750 Depth=3
	s_or_b64 exec, exec, s[40:41]
	s_or_b64 exec, exec, s[28:29]
                                        ; implicit-def: $vgpr0
	s_and_saveexec_b64 s[28:29], s[24:25]
	s_xor_b64 s[28:29], exec, s[28:29]
	s_cbranch_execnz .LBB4_827
.LBB4_900:                              ;   in Loop: Header=BB4_750 Depth=3
	s_andn2_saveexec_b64 s[26:27], s[28:29]
	s_cbranch_execz .LBB4_919
.LBB4_901:                              ;   in Loop: Header=BB4_750 Depth=3
	s_and_saveexec_b64 s[28:29], s[56:57]
	s_xor_b64 s[28:29], exec, s[28:29]
	s_cbranch_execz .LBB4_916
; %bb.902:                              ;   in Loop: Header=BB4_750 Depth=3
	s_and_saveexec_b64 s[40:41], s[16:17]
	s_cbranch_execz .LBB4_915
; %bb.903:                              ;   in Loop: Header=BB4_750 Depth=3
	s_mov_b64 s[90:91], exec
	v_mbcnt_lo_u32_b32 v0, s90, 0
	v_mbcnt_hi_u32_b32 v0, s91, v0
	v_cmp_eq_u32_e32 vcc, 0, v0
	;;#ASMSTART
	s_waitcnt lgkmcnt(0) vmcnt(0)
	;;#ASMEND
	s_and_saveexec_b64 s[88:89], vcc
	s_cbranch_execz .LBB4_905
; %bb.904:                              ;   in Loop: Header=BB4_750 Depth=3
	s_bcnt1_i32_b64 s8, s[90:91]
	v_mov_b32_e32 v0, s8
	v_mov_b32_e32 v1, v34
	s_waitcnt lgkmcnt(0)
	ds_add_u64 v0, v[0:1]
	s_trap 2
.LBB4_905:                              ;   in Loop: Header=BB4_750 Depth=3
	s_or_b64 exec, exec, s[88:89]
	s_trap 2
	ds_read_b64 v[0:1], v0
	s_waitcnt vmcnt(0) lgkmcnt(0)
	v_add_co_u32_e32 v28, vcc, v28, v39
	v_addc_co_u32_e32 v29, vcc, 0, v29, vcc
	v_cmp_lt_u64_e32 vcc, v[0:1], v[28:29]
	s_and_saveexec_b64 s[88:89], vcc
	s_cbranch_execz .LBB4_914
; %bb.906:                              ;   in Loop: Header=BB4_750 Depth=3
	s_mov_b32 s8, 0
	s_mov_b64 s[90:91], 0
                                        ; implicit-def: $sgpr92_sgpr93
                                        ; implicit-def: $sgpr94_sgpr95
	s_branch .LBB4_908
.LBB4_907:                              ;   in Loop: Header=BB4_908 Depth=4
	s_or_b64 exec, exec, s[34:35]
	s_and_b64 vcc, exec, vcc
	s_or_b64 s[90:91], vcc, s[90:91]
	s_andn2_b64 s[92:93], s[92:93], exec
	s_and_b64 vcc, s[94:95], exec
	s_or_b64 s[92:93], s[92:93], vcc
	s_andn2_b64 exec, exec, s[90:91]
	s_cbranch_execz .LBB4_912
.LBB4_908:                              ;   Parent Loop BB4_47 Depth=1
                                        ;     Parent Loop BB4_747 Depth=2
                                        ;       Parent Loop BB4_750 Depth=3
                                        ; =>      This Inner Loop Header: Depth=4
	s_add_i32 s8, s8, 1
	s_cmpk_lg_i32 s8, 0x2710
	s_cselect_b64 s[30:31], -1, 0
	s_and_b64 vcc, exec, s[30:31]
	s_cbranch_vccz .LBB4_910
; %bb.909:                              ;   in Loop: Header=BB4_908 Depth=4
	s_mov_b64 vcc, -1
	s_or_b64 s[94:95], s[94:95], exec
	s_and_saveexec_b64 s[34:35], s[30:31]
	s_cbranch_execz .LBB4_907
	s_branch .LBB4_911
.LBB4_910:                              ;   in Loop: Header=BB4_908 Depth=4
	s_trap 2
	ds_read_b64 v[0:1], v0
	s_andn2_b64 s[30:31], s[30:31], exec
	s_mov_b32 s8, 0
	s_waitcnt lgkmcnt(0)
	flat_load_dword v0, v[0:1] glc
	s_waitcnt vmcnt(0) lgkmcnt(0)
	buffer_wbinvl1_vol
	v_cmp_eq_u32_e32 vcc, 0, v0
	s_and_b64 vcc, vcc, exec
	s_or_b64 s[30:31], s[30:31], vcc
	s_mov_b64 vcc, -1
	s_or_b64 s[94:95], s[94:95], exec
	s_and_saveexec_b64 s[34:35], s[30:31]
	s_cbranch_execz .LBB4_907
.LBB4_911:                              ;   in Loop: Header=BB4_908 Depth=4
	s_sleep 1
	s_trap 2
	ds_read_b64 v[0:1], v0
	s_waitcnt lgkmcnt(0)
	s_andn2_b64 s[94:95], s[94:95], exec
	v_cmp_ge_u64_e32 vcc, v[0:1], v[28:29]
	s_orn2_b64 vcc, vcc, exec
	s_branch .LBB4_907
.LBB4_912:                              ;   in Loop: Header=BB4_750 Depth=3
	s_or_b64 exec, exec, s[90:91]
	s_and_saveexec_b64 s[90:91], s[92:93]
	s_xor_b64 s[90:91], exec, s[90:91]
	s_cbranch_execz .LBB4_914
; %bb.913:                              ;   in Loop: Header=BB4_750 Depth=3
	ds_write_b32 v0, v45
	s_trap 2
.LBB4_914:                              ;   in Loop: Header=BB4_750 Depth=3
	s_or_b64 exec, exec, s[88:89]
	;;#ASMSTART
	s_wakeup
	;;#ASMEND
.LBB4_915:                              ;   in Loop: Header=BB4_750 Depth=3
	s_or_b64 exec, exec, s[40:41]
.LBB4_916:                              ;   in Loop: Header=BB4_750 Depth=3
	s_andn2_saveexec_b64 s[28:29], s[28:29]
	s_cbranch_execz .LBB4_918
; %bb.917:                              ;   in Loop: Header=BB4_750 Depth=3
	;;#ASMSTART
	s_waitcnt lgkmcnt(0) vmcnt(0)
	;;#ASMEND
	s_waitcnt vmcnt(0) lgkmcnt(0)
	s_barrier
.LBB4_918:                              ;   in Loop: Header=BB4_750 Depth=3
	s_or_b64 exec, exec, s[28:29]
	v_and_b32_e32 v0, 16, v59
.LBB4_919:                              ;   in Loop: Header=BB4_750 Depth=3
	s_or_b64 exec, exec, s[26:27]
	v_cmp_ne_u32_e32 vcc, 0, v0
	s_xor_b64 s[26:27], s[12:13], -1
	s_and_b64 s[28:29], vcc, s[26:27]
	s_and_saveexec_b64 s[26:27], s[28:29]
	s_cbranch_execz .LBB4_921
; %bb.920:                              ;   in Loop: Header=BB4_750 Depth=3
	s_waitcnt vmcnt(0)
	flat_store_dword v[46:47], v45
.LBB4_921:                              ;   in Loop: Header=BB4_750 Depth=3
	s_or_b64 exec, exec, s[26:27]
	v_and_b32_e32 v0, 48, v59
	v_cmp_ne_u32_e32 vcc, 0, v0
	s_and_saveexec_b64 s[26:27], vcc
	s_cbranch_execz .LBB4_749
; %bb.922:                              ;   in Loop: Header=BB4_750 Depth=3
	v_add_co_u32_e32 v20, vcc, 2, v20
	v_addc_co_u32_e32 v21, vcc, 0, v21, vcc
	flat_store_dwordx2 v[22:23], v[20:21]
	s_branch .LBB4_749
.LBB4_923:                              ;   in Loop: Header=BB4_747 Depth=2
	s_or_b64 exec, exec, s[42:43]
	v_cmp_gt_i32_e32 vcc, 2, v0
	s_and_saveexec_b64 s[28:29], vcc
	s_cbranch_execz .LBB4_999
.LBB4_924:                              ;   in Loop: Header=BB4_747 Depth=2
	v_cmp_eq_u32_e64 s[42:43], 0, v0
	s_mov_b64 s[40:41], 0
	s_branch .LBB4_926
.LBB4_925:                              ;   in Loop: Header=BB4_926 Depth=3
	s_or_b64 exec, exec, s[26:27]
	v_add_u32_e32 v15, v12, v15
	s_mov_b64 s[42:43], 0
	s_andn2_b64 exec, exec, s[40:41]
	s_cbranch_execz .LBB4_1000
.LBB4_926:                              ;   Parent Loop BB4_47 Depth=1
                                        ;     Parent Loop BB4_747 Depth=2
                                        ; =>    This Loop Header: Depth=3
                                        ;         Child Loop BB4_932 Depth 4
                                        ;         Child Loop BB4_960 Depth 4
	;; [unrolled: 1-line block ×3, first 2 shown]
	v_sub_u32_e32 v0, v3, v15
	v_min_i32_e32 v12, v12, v0
	v_and_b32_e32 v0, 12, v59
	v_cmp_ne_u32_e32 vcc, 0, v0
	s_and_saveexec_b64 s[76:77], vcc
	s_cbranch_execz .LBB4_952
; %bb.927:                              ;   in Loop: Header=BB4_926 Depth=3
	v_and_b32_e32 v0, 8, v59
	s_waitcnt vmcnt(0) lgkmcnt(0)
	v_add_co_u32_e32 v4, vcc, v32, v0
	v_addc_co_u32_e32 v5, vcc, 0, v33, vcc
	v_add_co_u32_e32 v8, vcc, 2, v20
	v_addc_co_u32_e32 v9, vcc, 0, v21, vcc
	v_cmp_lt_u64_e32 vcc, v[4:5], v[8:9]
	s_and_saveexec_b64 s[78:79], vcc
	s_cbranch_execz .LBB4_939
; %bb.928:                              ;   in Loop: Header=BB4_926 Depth=3
	v_and_b32_e32 v1, 64, v59
	s_mov_b32 s8, 0
	v_cmp_eq_u32_e32 vcc, 0, v1
	s_mov_b64 s[88:89], 0
                                        ; implicit-def: $sgpr90_sgpr91
                                        ; implicit-def: $sgpr92_sgpr93
                                        ; implicit-def: $sgpr94_sgpr95
	s_branch .LBB4_932
.LBB4_929:                              ;   in Loop: Header=BB4_932 Depth=4
	s_waitcnt vmcnt(0) lgkmcnt(0)
	v_add_co_u32_e64 v4, s[26:27], v32, v0
	v_addc_co_u32_e64 v5, s[26:27], 0, v33, s[26:27]
	v_cmp_ge_u64_e64 s[26:27], v[4:5], v[8:9]
	s_or_b64 s[36:37], s[36:37], exec
	s_orn2_b64 s[34:35], s[26:27], exec
.LBB4_930:                              ;   in Loop: Header=BB4_932 Depth=4
	s_or_b64 exec, exec, s[48:49]
	s_andn2_b64 s[26:27], s[94:95], exec
	s_and_b64 s[94:95], s[36:37], exec
	s_or_b64 s[94:95], s[26:27], s[94:95]
	s_andn2_b64 s[26:27], s[92:93], exec
	s_and_b64 s[92:93], s[34:35], exec
	s_or_b64 s[92:93], s[26:27], s[92:93]
.LBB4_931:                              ;   in Loop: Header=BB4_932 Depth=4
	s_or_b64 exec, exec, s[30:31]
	s_and_b64 s[26:27], exec, s[92:93]
	s_or_b64 s[88:89], s[26:27], s[88:89]
	s_andn2_b64 s[26:27], s[90:91], exec
	s_and_b64 s[90:91], s[94:95], exec
	s_or_b64 s[90:91], s[26:27], s[90:91]
	s_andn2_b64 exec, exec, s[88:89]
	s_cbranch_execz .LBB4_936
.LBB4_932:                              ;   Parent Loop BB4_47 Depth=1
                                        ;     Parent Loop BB4_747 Depth=2
                                        ;       Parent Loop BB4_926 Depth=3
                                        ; =>      This Inner Loop Header: Depth=4
	s_sleep 1
	s_waitcnt vmcnt(0) lgkmcnt(0)
	flat_load_dwordx2 v[32:33], v[22:23] glc
	s_or_b64 s[94:95], s[94:95], exec
	s_or_b64 s[92:93], s[92:93], exec
                                        ; implicit-def: $vgpr1
	s_and_saveexec_b64 s[30:31], vcc
	s_cbranch_execz .LBB4_931
; %bb.933:                              ;   in Loop: Header=BB4_932 Depth=4
	s_cmpk_lt_i32 s8, 0x270f
	s_cselect_b64 s[38:39], -1, 0
	s_cmpk_gt_i32 s8, 0x270e
	s_mov_b64 s[34:35], -1
	s_cbranch_scc0 .LBB4_935
; %bb.934:                              ;   in Loop: Header=BB4_932 Depth=4
	s_trap 2
	ds_read_b64 v[4:5], v0
	s_andn2_b64 s[38:39], s[38:39], exec
	s_mov_b32 s8, 0
	s_mov_b64 s[36:37], 0
	s_waitcnt vmcnt(0) lgkmcnt(0)
	flat_load_dword v1, v[4:5] glc
	s_waitcnt vmcnt(0) lgkmcnt(0)
	buffer_wbinvl1_vol
	v_cmp_eq_u32_e64 s[26:27], 0, v1
	s_and_b64 s[26:27], s[26:27], exec
	s_or_b64 s[38:39], s[38:39], s[26:27]
	s_and_saveexec_b64 s[48:49], s[38:39]
	s_cbranch_execz .LBB4_930
	s_branch .LBB4_929
.LBB4_935:                              ;   in Loop: Header=BB4_932 Depth=4
	s_add_i32 s8, s8, 1
	s_mov_b64 s[36:37], -1
                                        ; implicit-def: $vgpr1
	s_and_saveexec_b64 s[48:49], s[38:39]
	s_cbranch_execz .LBB4_930
	s_branch .LBB4_929
.LBB4_936:                              ;   in Loop: Header=BB4_926 Depth=3
	s_or_b64 exec, exec, s[88:89]
	s_xor_b64 s[26:27], s[90:91], -1
	s_and_saveexec_b64 s[88:89], s[26:27]
	s_xor_b64 s[26:27], exec, s[88:89]
	s_cbranch_execz .LBB4_938
; %bb.937:                              ;   in Loop: Header=BB4_926 Depth=3
	v_or_b32_e32 v59, 64, v59
	s_waitcnt lgkmcnt(0)
	ds_write_b32 v0, v1
	s_trap 2
.LBB4_938:                              ;   in Loop: Header=BB4_926 Depth=3
	s_or_b64 exec, exec, s[26:27]
.LBB4_939:                              ;   in Loop: Header=BB4_926 Depth=3
	s_or_b64 exec, exec, s[78:79]
	v_and_b32_e32 v1, 0x108, v59
	v_cmp_ne_u32_e32 vcc, s55, v1
	;;#ASMSTART
	s_wakeup
	;;#ASMEND
                                        ; implicit-def: $vgpr10_vgpr11
	s_and_saveexec_b64 s[26:27], vcc
	s_xor_b64 s[26:27], exec, s[26:27]
; %bb.940:                              ;   in Loop: Header=BB4_926 Depth=3
	v_and_b32_e32 v10, 7, v20
	v_mov_b32_e32 v11, v34
                                        ; implicit-def: $vgpr20_vgpr21
; %bb.941:                              ;   in Loop: Header=BB4_926 Depth=3
	s_andn2_saveexec_b64 s[26:27], s[26:27]
	s_cbranch_execz .LBB4_943
; %bb.942:                              ;   in Loop: Header=BB4_926 Depth=3
	v_and_b32_e32 v10, 7, v20
	v_mad_u64_u32 v[4:5], s[78:79], v10, 24, v[16:17]
	v_mov_b32_e32 v11, v34
	v_ashrrev_i32_e32 v13, 31, v12
	flat_store_dwordx2 v[4:5], v[12:13] offset:8
.LBB4_943:                              ;   in Loop: Header=BB4_926 Depth=3
	s_or_b64 exec, exec, s[26:27]
	v_and_b32_e32 v1, 0x100, v59
	v_cmp_ne_u32_e32 vcc, 0, v1
	s_mov_b64 s[26:27], -1
                                        ; implicit-def: $vgpr13_vgpr14
	s_and_saveexec_b64 s[78:79], vcc
	s_cbranch_execz .LBB4_947
; %bb.944:                              ;   in Loop: Header=BB4_926 Depth=3
	v_mad_u64_u32 v[48:49], s[26:27], v10, 24, v[16:17]
                                        ; implicit-def: $vgpr13_vgpr14
	v_mov_b32_e32 v1, v49
	v_mad_u64_u32 v[4:5], s[26:27], v11, 24, v[1:2]
	v_mov_b32_e32 v49, v4
	flat_load_dword v1, v[48:49]
	s_waitcnt vmcnt(0) lgkmcnt(0)
	v_cmp_ne_u32_e32 vcc, 1, v1
	v_cmp_eq_u32_e64 s[26:27], 1, v1
	s_and_saveexec_b64 s[88:89], s[26:27]
	s_cbranch_execz .LBB4_946
; %bb.945:                              ;   in Loop: Header=BB4_926 Depth=3
	flat_load_dword v13, v[48:49] offset:4 glc
	s_waitcnt vmcnt(0) lgkmcnt(0)
	v_ashrrev_i32_e32 v14, 31, v13
.LBB4_946:                              ;   in Loop: Header=BB4_926 Depth=3
	s_or_b64 exec, exec, s[88:89]
	s_orn2_b64 s[26:27], vcc, exec
.LBB4_947:                              ;   in Loop: Header=BB4_926 Depth=3
	s_or_b64 exec, exec, s[78:79]
	s_and_saveexec_b64 s[78:79], s[26:27]
	s_cbranch_execz .LBB4_949
; %bb.948:                              ;   in Loop: Header=BB4_926 Depth=3
	v_mul_lo_u32 v1, v11, v61
	v_mul_lo_u32 v2, v10, v58
	v_mad_u64_u32 v[13:14], s[26:27], v10, v61, 0
	v_add3_u32 v14, v14, v2, v1
.LBB4_949:                              ;   in Loop: Header=BB4_926 Depth=3
	s_or_b64 exec, exec, s[78:79]
	v_cmp_eq_u32_e32 vcc, 0, v0
	v_mov_b32_e32 v0, 0xd0
	v_mov_b32_e32 v1, 0x88
	v_cndmask_b32_e32 v2, v0, v1, vcc
	v_add_co_u32_e32 v0, vcc, v56, v13
	v_addc_co_u32_e32 v1, vcc, v57, v14, vcc
	v_add_u32_e32 v2, v0, v2
	ds_write_b64 v2, v[0:1] offset:584
	v_and_b32_e32 v0, 0x2000, v59
	v_cmp_ne_u32_e32 vcc, 0, v0
	s_and_saveexec_b64 s[26:27], vcc
	s_cbranch_execz .LBB4_951
; %bb.950:                              ;   in Loop: Header=BB4_926 Depth=3
	ds_read_b64 v[0:1], v0 offset:872
	s_waitcnt lgkmcnt(0)
	v_add_co_u32_e32 v0, vcc, 1, v0
	v_addc_co_u32_e32 v1, vcc, 0, v1, vcc
	ds_write_b64 v0, v[0:1] offset:872
.LBB4_951:                              ;   in Loop: Header=BB4_926 Depth=3
	s_or_b64 exec, exec, s[26:27]
	v_mov_b32_e32 v21, v9
	v_mov_b32_e32 v20, v8
.LBB4_952:                              ;   in Loop: Header=BB4_926 Depth=3
	s_or_b64 exec, exec, s[76:77]
	s_xor_b64 s[26:27], s[42:43], -1
	s_and_b64 s[26:27], exec, s[26:27]
	s_or_b64 s[40:41], s[26:27], s[40:41]
	s_and_saveexec_b64 s[26:27], s[10:11]
	s_cbranch_execz .LBB4_971
; %bb.953:                              ;   in Loop: Header=BB4_926 Depth=3
	s_and_saveexec_b64 s[42:43], s[56:57]
	s_xor_b64 s[42:43], exec, s[42:43]
	s_cbranch_execz .LBB4_968
; %bb.954:                              ;   in Loop: Header=BB4_926 Depth=3
	s_and_saveexec_b64 s[76:77], s[16:17]
	s_cbranch_execz .LBB4_967
; %bb.955:                              ;   in Loop: Header=BB4_926 Depth=3
	s_mov_b64 s[88:89], exec
	v_mbcnt_lo_u32_b32 v0, s88, 0
	v_mbcnt_hi_u32_b32 v0, s89, v0
	v_cmp_eq_u32_e32 vcc, 0, v0
	s_waitcnt vmcnt(0) lgkmcnt(0)
	buffer_wbinvl1_vol
	s_and_saveexec_b64 s[78:79], vcc
	s_cbranch_execz .LBB4_957
; %bb.956:                              ;   in Loop: Header=BB4_926 Depth=3
	s_bcnt1_i32_b64 s8, s[88:89]
	v_mov_b32_e32 v0, s8
	v_mov_b32_e32 v1, v34
	ds_add_u64 v0, v[0:1]
	s_trap 2
.LBB4_957:                              ;   in Loop: Header=BB4_926 Depth=3
	s_or_b64 exec, exec, s[78:79]
	s_trap 2
	ds_read_b64 v[0:1], v0
	s_waitcnt lgkmcnt(0)
	v_add_co_u32_e32 v28, vcc, v28, v39
	v_addc_co_u32_e32 v29, vcc, 0, v29, vcc
	v_cmp_lt_u64_e32 vcc, v[0:1], v[28:29]
	s_and_saveexec_b64 s[78:79], vcc
	s_cbranch_execz .LBB4_966
; %bb.958:                              ;   in Loop: Header=BB4_926 Depth=3
	s_mov_b32 s8, 0
	s_mov_b64 s[88:89], 0
                                        ; implicit-def: $sgpr90_sgpr91
                                        ; implicit-def: $sgpr92_sgpr93
	s_branch .LBB4_960
.LBB4_959:                              ;   in Loop: Header=BB4_960 Depth=4
	s_or_b64 exec, exec, s[30:31]
	s_and_b64 s[94:95], exec, vcc
	s_or_b64 s[88:89], s[94:95], s[88:89]
	s_andn2_b64 s[90:91], s[90:91], exec
	s_and_b64 s[94:95], s[92:93], exec
	s_or_b64 s[90:91], s[90:91], s[94:95]
	s_andn2_b64 exec, exec, s[88:89]
	s_cbranch_execz .LBB4_964
.LBB4_960:                              ;   Parent Loop BB4_47 Depth=1
                                        ;     Parent Loop BB4_747 Depth=2
                                        ;       Parent Loop BB4_926 Depth=3
                                        ; =>      This Inner Loop Header: Depth=4
	s_add_i32 s8, s8, 1
	s_cmpk_lg_i32 s8, 0x2710
	s_cselect_b64 s[94:95], -1, 0
	s_and_b64 vcc, exec, s[94:95]
	s_cbranch_vccz .LBB4_962
; %bb.961:                              ;   in Loop: Header=BB4_960 Depth=4
	s_mov_b64 vcc, -1
	s_or_b64 s[92:93], s[92:93], exec
	s_and_saveexec_b64 s[30:31], s[94:95]
	s_cbranch_execz .LBB4_959
	s_branch .LBB4_963
.LBB4_962:                              ;   in Loop: Header=BB4_960 Depth=4
	s_trap 2
	ds_read_b64 v[0:1], v0
	s_andn2_b64 s[94:95], s[94:95], exec
	s_mov_b32 s8, 0
	s_waitcnt lgkmcnt(0)
	flat_load_dword v0, v[0:1] glc
	s_waitcnt vmcnt(0) lgkmcnt(0)
	buffer_wbinvl1_vol
	v_cmp_eq_u32_e32 vcc, 0, v0
	s_and_b64 vcc, vcc, exec
	s_or_b64 s[94:95], s[94:95], vcc
	s_mov_b64 vcc, -1
	s_or_b64 s[92:93], s[92:93], exec
	s_and_saveexec_b64 s[30:31], s[94:95]
	s_cbranch_execz .LBB4_959
.LBB4_963:                              ;   in Loop: Header=BB4_960 Depth=4
	s_sleep 1
	s_trap 2
	ds_read_b64 v[0:1], v0
	s_waitcnt lgkmcnt(0)
	s_andn2_b64 s[92:93], s[92:93], exec
	v_cmp_ge_u64_e32 vcc, v[0:1], v[28:29]
	s_orn2_b64 vcc, vcc, exec
	s_branch .LBB4_959
.LBB4_964:                              ;   in Loop: Header=BB4_926 Depth=3
	s_or_b64 exec, exec, s[88:89]
	s_and_saveexec_b64 s[88:89], s[90:91]
	s_xor_b64 s[88:89], exec, s[88:89]
	s_cbranch_execz .LBB4_966
; %bb.965:                              ;   in Loop: Header=BB4_926 Depth=3
	ds_write_b32 v0, v45
	s_trap 2
.LBB4_966:                              ;   in Loop: Header=BB4_926 Depth=3
	s_or_b64 exec, exec, s[78:79]
	;;#ASMSTART
	s_wakeup
	;;#ASMEND
.LBB4_967:                              ;   in Loop: Header=BB4_926 Depth=3
	s_or_b64 exec, exec, s[76:77]
.LBB4_968:                              ;   in Loop: Header=BB4_926 Depth=3
	s_andn2_saveexec_b64 s[42:43], s[42:43]
	s_cbranch_execz .LBB4_970
; %bb.969:                              ;   in Loop: Header=BB4_926 Depth=3
	s_waitcnt vmcnt(0) lgkmcnt(0)
	buffer_wbinvl1_vol
	s_barrier
.LBB4_970:                              ;   in Loop: Header=BB4_926 Depth=3
	s_or_b64 exec, exec, s[42:43]
.LBB4_971:                              ;   in Loop: Header=BB4_926 Depth=3
	s_or_b64 exec, exec, s[26:27]
                                        ; implicit-def: $vgpr0
	s_and_saveexec_b64 s[26:27], s[24:25]
	s_xor_b64 s[26:27], exec, s[26:27]
	s_cbranch_execz .LBB4_975
; %bb.972:                              ;   in Loop: Header=BB4_926 Depth=3
	s_trap 2
	ds_read_b32 v0, v0
	v_cmp_lt_i32_e32 vcc, 0, v12
	v_and_b32_e32 v1, 16, v59
	s_waitcnt lgkmcnt(0)
	v_readfirstlane_b32 s8, v0
	s_cmp_eq_u32 s8, 0
	s_cselect_b64 s[42:43], -1, 0
	s_and_b64 s[42:43], vcc, s[42:43]
	v_cmp_ne_u32_e32 vcc, 0, v1
	v_and_b32_e32 v0, 16, v59
	s_and_b64 s[76:77], vcc, s[42:43]
	s_and_saveexec_b64 s[42:43], s[76:77]
	s_cbranch_execz .LBB4_974
; %bb.973:                              ;   in Loop: Header=BB4_926 Depth=3
	v_mov_b32_e32 v0, 1
	s_waitcnt vmcnt(0)
	buffer_wbinvl1_vol
.LBB4_974:                              ;   in Loop: Header=BB4_926 Depth=3
	s_or_b64 exec, exec, s[42:43]
	s_andn2_saveexec_b64 s[26:27], s[26:27]
	s_cbranch_execz .LBB4_994
	s_branch .LBB4_976
.LBB4_975:                              ;   in Loop: Header=BB4_926 Depth=3
	s_andn2_saveexec_b64 s[26:27], s[26:27]
	s_cbranch_execz .LBB4_994
.LBB4_976:                              ;   in Loop: Header=BB4_926 Depth=3
	s_and_saveexec_b64 s[42:43], s[56:57]
	s_xor_b64 s[42:43], exec, s[42:43]
	s_cbranch_execz .LBB4_991
; %bb.977:                              ;   in Loop: Header=BB4_926 Depth=3
	s_and_saveexec_b64 s[76:77], s[16:17]
	s_cbranch_execz .LBB4_990
; %bb.978:                              ;   in Loop: Header=BB4_926 Depth=3
	s_mov_b64 s[88:89], exec
	v_mbcnt_lo_u32_b32 v0, s88, 0
	v_mbcnt_hi_u32_b32 v0, s89, v0
	v_cmp_eq_u32_e32 vcc, 0, v0
	;;#ASMSTART
	s_waitcnt lgkmcnt(0) vmcnt(0)
	;;#ASMEND
	s_and_saveexec_b64 s[78:79], vcc
	s_cbranch_execz .LBB4_980
; %bb.979:                              ;   in Loop: Header=BB4_926 Depth=3
	s_bcnt1_i32_b64 s8, s[88:89]
	v_mov_b32_e32 v0, s8
	v_mov_b32_e32 v1, v34
	s_waitcnt lgkmcnt(0)
	ds_add_u64 v0, v[0:1]
	s_trap 2
.LBB4_980:                              ;   in Loop: Header=BB4_926 Depth=3
	s_or_b64 exec, exec, s[78:79]
	s_trap 2
	ds_read_b64 v[0:1], v0
	s_waitcnt vmcnt(0) lgkmcnt(0)
	v_add_co_u32_e32 v28, vcc, v28, v39
	v_addc_co_u32_e32 v29, vcc, 0, v29, vcc
	v_cmp_lt_u64_e32 vcc, v[0:1], v[28:29]
	s_and_saveexec_b64 s[78:79], vcc
	s_cbranch_execz .LBB4_989
; %bb.981:                              ;   in Loop: Header=BB4_926 Depth=3
	s_mov_b32 s8, 0
	s_mov_b64 s[88:89], 0
                                        ; implicit-def: $sgpr90_sgpr91
                                        ; implicit-def: $sgpr92_sgpr93
	s_branch .LBB4_983
.LBB4_982:                              ;   in Loop: Header=BB4_983 Depth=4
	s_or_b64 exec, exec, s[30:31]
	s_and_b64 s[94:95], exec, vcc
	s_or_b64 s[88:89], s[94:95], s[88:89]
	s_andn2_b64 s[90:91], s[90:91], exec
	s_and_b64 s[94:95], s[92:93], exec
	s_or_b64 s[90:91], s[90:91], s[94:95]
	s_andn2_b64 exec, exec, s[88:89]
	s_cbranch_execz .LBB4_987
.LBB4_983:                              ;   Parent Loop BB4_47 Depth=1
                                        ;     Parent Loop BB4_747 Depth=2
                                        ;       Parent Loop BB4_926 Depth=3
                                        ; =>      This Inner Loop Header: Depth=4
	s_add_i32 s8, s8, 1
	s_cmpk_lg_i32 s8, 0x2710
	s_cselect_b64 s[94:95], -1, 0
	s_and_b64 vcc, exec, s[94:95]
	s_cbranch_vccz .LBB4_985
; %bb.984:                              ;   in Loop: Header=BB4_983 Depth=4
	s_mov_b64 vcc, -1
	s_or_b64 s[92:93], s[92:93], exec
	s_and_saveexec_b64 s[30:31], s[94:95]
	s_cbranch_execz .LBB4_982
	s_branch .LBB4_986
.LBB4_985:                              ;   in Loop: Header=BB4_983 Depth=4
	s_trap 2
	ds_read_b64 v[0:1], v0
	s_andn2_b64 s[94:95], s[94:95], exec
	s_mov_b32 s8, 0
	s_waitcnt lgkmcnt(0)
	flat_load_dword v0, v[0:1] glc
	s_waitcnt vmcnt(0) lgkmcnt(0)
	buffer_wbinvl1_vol
	v_cmp_eq_u32_e32 vcc, 0, v0
	s_and_b64 vcc, vcc, exec
	s_or_b64 s[94:95], s[94:95], vcc
	s_mov_b64 vcc, -1
	s_or_b64 s[92:93], s[92:93], exec
	s_and_saveexec_b64 s[30:31], s[94:95]
	s_cbranch_execz .LBB4_982
.LBB4_986:                              ;   in Loop: Header=BB4_983 Depth=4
	s_sleep 1
	s_trap 2
	ds_read_b64 v[0:1], v0
	s_waitcnt lgkmcnt(0)
	s_andn2_b64 s[92:93], s[92:93], exec
	v_cmp_ge_u64_e32 vcc, v[0:1], v[28:29]
	s_orn2_b64 vcc, vcc, exec
	s_branch .LBB4_982
.LBB4_987:                              ;   in Loop: Header=BB4_926 Depth=3
	s_or_b64 exec, exec, s[88:89]
	s_and_saveexec_b64 s[88:89], s[90:91]
	s_xor_b64 s[88:89], exec, s[88:89]
	s_cbranch_execz .LBB4_989
; %bb.988:                              ;   in Loop: Header=BB4_926 Depth=3
	ds_write_b32 v0, v45
	s_trap 2
.LBB4_989:                              ;   in Loop: Header=BB4_926 Depth=3
	s_or_b64 exec, exec, s[78:79]
	;;#ASMSTART
	s_wakeup
	;;#ASMEND
.LBB4_990:                              ;   in Loop: Header=BB4_926 Depth=3
	s_or_b64 exec, exec, s[76:77]
.LBB4_991:                              ;   in Loop: Header=BB4_926 Depth=3
	s_andn2_saveexec_b64 s[42:43], s[42:43]
	s_cbranch_execz .LBB4_993
; %bb.992:                              ;   in Loop: Header=BB4_926 Depth=3
	;;#ASMSTART
	s_waitcnt lgkmcnt(0) vmcnt(0)
	;;#ASMEND
	s_waitcnt vmcnt(0) lgkmcnt(0)
	s_barrier
.LBB4_993:                              ;   in Loop: Header=BB4_926 Depth=3
	s_or_b64 exec, exec, s[42:43]
	v_and_b32_e32 v0, 16, v59
.LBB4_994:                              ;   in Loop: Header=BB4_926 Depth=3
	s_or_b64 exec, exec, s[26:27]
	v_cmp_ne_u32_e32 vcc, 0, v0
	s_xor_b64 s[26:27], s[12:13], -1
	s_and_b64 s[42:43], vcc, s[26:27]
	s_and_saveexec_b64 s[26:27], s[42:43]
	s_cbranch_execz .LBB4_996
; %bb.995:                              ;   in Loop: Header=BB4_926 Depth=3
	s_waitcnt vmcnt(0)
	flat_store_dword v[46:47], v45
.LBB4_996:                              ;   in Loop: Header=BB4_926 Depth=3
	s_or_b64 exec, exec, s[26:27]
	v_and_b32_e32 v0, 48, v59
	v_cmp_ne_u32_e32 vcc, 0, v0
	s_and_saveexec_b64 s[26:27], vcc
	s_cbranch_execz .LBB4_925
; %bb.997:                              ;   in Loop: Header=BB4_926 Depth=3
	v_add_co_u32_e32 v20, vcc, 2, v20
	v_addc_co_u32_e32 v21, vcc, 0, v21, vcc
	flat_store_dwordx2 v[22:23], v[20:21]
	s_branch .LBB4_925
.LBB4_998:                              ;   in Loop: Header=BB4_747 Depth=2
	s_or_b64 exec, exec, s[76:77]
	s_or_b64 exec, exec, s[42:43]
	v_cmp_gt_i32_e32 vcc, 2, v0
	s_and_saveexec_b64 s[28:29], vcc
	s_cbranch_execnz .LBB4_924
.LBB4_999:                              ;   in Loop: Header=BB4_747 Depth=2
	s_or_b64 exec, exec, s[28:29]
	s_add_i32 s8, s9, 1
	s_cmp_eq_u32 s9, s44
	s_cbranch_scc0 .LBB4_1001
	s_branch .LBB4_1002
.LBB4_1000:                             ;   in Loop: Header=BB4_747 Depth=2
	s_or_b64 exec, exec, s[40:41]
	s_or_b64 exec, exec, s[28:29]
	s_add_i32 s8, s9, 1
	s_cmp_eq_u32 s9, s44
	s_cbranch_scc1 .LBB4_1002
.LBB4_1001:                             ;   in Loop: Header=BB4_747 Depth=2
	s_mov_b32 s9, s8
	s_branch .LBB4_747
.LBB4_1002:                             ;   in Loop: Header=BB4_47 Depth=1
	buffer_load_dword v2, off, s[0:3], s33 offset:172 ; 4-byte Folded Reload
	buffer_load_dword v3, off, s[0:3], s33 offset:176 ; 4-byte Folded Reload
	v_mov_b32_e32 v53, 0
	s_waitcnt vmcnt(0)
	v_mul_lo_u32 v1, v2, s96
	v_mul_lo_u32 v0, v3, s45
	v_mad_u64_u32 v[8:9], s[8:9], v2, s45, 0
	v_add3_u32 v9, v9, v1, v0
	buffer_load_dword v0, off, s[0:3], s33 offset:164 ; 4-byte Folded Reload
	buffer_load_dword v1, off, s[0:3], s33 offset:168 ; 4-byte Folded Reload
	s_waitcnt vmcnt(0)
	v_sub_co_u32_e32 v0, vcc, v0, v8
	v_subb_co_u32_e32 v1, vcc, v1, v9, vcc
	v_cmp_lt_i64_e32 vcc, v[2:3], v[0:1]
	v_cndmask_b32_e32 v1, v0, v2, vcc
	v_max_i32_e32 v3, 0, v1
	v_add_u32_e32 v2, 31, v3
	v_lshrrev_b32_e32 v2, 1, v2
	v_and_b32_e32 v2, 0x3ffffff0, v2
	v_cmp_lt_i32_e32 vcc, 0, v1
	v_mov_b32_e32 v0, 0
	v_max_i32_e32 v52, s47, v2
	s_and_b64 s[8:9], s[72:73], vcc
	s_and_saveexec_b64 s[28:29], s[8:9]
	s_cbranch_execz .LBB4_1140
; %bb.1003:                             ;   in Loop: Header=BB4_47 Depth=1
	buffer_load_dword v0, off, s[0:3], s33 offset:84 ; 4-byte Folded Reload
	s_mov_b32 s9, 1
	s_mov_b64 s[42:43], -1
	v_mov_b32_e32 v53, 0
	s_mov_b64 s[40:41], 0
	s_waitcnt vmcnt(0)
	v_add_co_u32_e32 v54, vcc, v8, v0
	buffer_load_dword v0, off, s[0:3], s33 offset:88 ; 4-byte Folded Reload
	s_waitcnt vmcnt(0)
	v_addc_co_u32_e32 v4, vcc, v9, v0, vcc
	s_branch .LBB4_1005
.LBB4_1004:                             ;   in Loop: Header=BB4_1005 Depth=2
	s_or_b64 exec, exec, s[26:27]
	v_add_u32_e32 v53, v52, v53
	v_cmp_ge_i32_e32 vcc, v53, v3
	s_xor_b64 s[26:27], s[42:43], -1
	s_or_b64 s[26:27], s[26:27], vcc
	s_and_b64 s[26:27], exec, s[26:27]
	s_or_b64 s[40:41], s[26:27], s[40:41]
	s_mov_b64 s[42:43], 0
	v_mov_b32_e32 v0, s9
	s_mov_b32 s9, 2
	s_andn2_b64 exec, exec, s[40:41]
	s_cbranch_execz .LBB4_1139
.LBB4_1005:                             ;   Parent Loop BB4_47 Depth=1
                                        ; =>  This Loop Header: Depth=2
                                        ;       Child Loop BB4_1013 Depth 3
                                        ;       Child Loop BB4_1037 Depth 3
	;; [unrolled: 1-line block ×9, first 2 shown]
	s_and_saveexec_b64 s[26:27], s[4:5]
	s_cbranch_execz .LBB4_1007
; %bb.1006:                             ;   in Loop: Header=BB4_1005 Depth=2
	s_trap 2
	ds_read_b128 v[8:11], v0
	v_ashrrev_i32_e32 v2, 31, v53
	s_waitcnt lgkmcnt(0)
	v_add_co_u32_e32 v0, vcc, v8, v54
	v_addc_co_u32_e32 v1, vcc, v9, v4, vcc
	v_add_co_u32_e32 v0, vcc, v0, v53
	v_addc_co_u32_e32 v1, vcc, v1, v2, vcc
	ds_write_b64 v0, v[0:1]
	v_add_co_u32_e32 v0, vcc, v10, v54
	v_addc_co_u32_e32 v1, vcc, v11, v4, vcc
	v_add_co_u32_e32 v0, vcc, v0, v53
	v_addc_co_u32_e32 v1, vcc, v1, v2, vcc
	v_cmp_ne_u64_e32 vcc, 0, v[10:11]
	v_cndmask_b32_e32 v1, 0, v1, vcc
	v_cndmask_b32_e32 v0, 0, v0, vcc
	ds_write_b64 v0, v[0:1]
.LBB4_1007:                             ;   in Loop: Header=BB4_1005 Depth=2
	s_or_b64 exec, exec, s[26:27]
	v_and_b32_e32 v0, 4, v59
	v_cmp_ne_u32_e32 vcc, 0, v0
	s_and_saveexec_b64 s[76:77], vcc
	s_cbranch_execz .LBB4_1029
; %bb.1008:                             ;   in Loop: Header=BB4_1005 Depth=2
	v_add_co_u32_e32 v8, vcc, 2, v20
	v_addc_co_u32_e32 v9, vcc, 0, v21, vcc
	s_waitcnt vmcnt(0) lgkmcnt(0)
	v_cmp_lt_u64_e32 vcc, v[32:33], v[8:9]
	s_and_saveexec_b64 s[78:79], vcc
	s_cbranch_execz .LBB4_1020
; %bb.1009:                             ;   in Loop: Header=BB4_1005 Depth=2
	v_and_b32_e32 v0, 64, v59
	s_mov_b32 s8, 0
	v_cmp_eq_u32_e32 vcc, 0, v0
	s_mov_b64 s[88:89], 0
                                        ; implicit-def: $sgpr90_sgpr91
                                        ; implicit-def: $sgpr92_sgpr93
                                        ; implicit-def: $sgpr94_sgpr95
	s_branch .LBB4_1013
.LBB4_1010:                             ;   in Loop: Header=BB4_1013 Depth=3
	s_waitcnt vmcnt(0) lgkmcnt(0)
	v_cmp_ge_u64_e64 s[26:27], v[32:33], v[8:9]
	s_or_b64 s[36:37], s[36:37], exec
	s_orn2_b64 s[34:35], s[26:27], exec
.LBB4_1011:                             ;   in Loop: Header=BB4_1013 Depth=3
	s_or_b64 exec, exec, s[48:49]
	s_andn2_b64 s[26:27], s[94:95], exec
	s_and_b64 s[94:95], s[36:37], exec
	s_or_b64 s[94:95], s[26:27], s[94:95]
	s_andn2_b64 s[26:27], s[92:93], exec
	s_and_b64 s[92:93], s[34:35], exec
	s_or_b64 s[92:93], s[26:27], s[92:93]
.LBB4_1012:                             ;   in Loop: Header=BB4_1013 Depth=3
	s_or_b64 exec, exec, s[30:31]
	s_and_b64 s[26:27], exec, s[92:93]
	s_or_b64 s[88:89], s[26:27], s[88:89]
	s_andn2_b64 s[26:27], s[90:91], exec
	s_and_b64 s[90:91], s[94:95], exec
	s_or_b64 s[90:91], s[26:27], s[90:91]
	s_andn2_b64 exec, exec, s[88:89]
	s_cbranch_execz .LBB4_1017
.LBB4_1013:                             ;   Parent Loop BB4_47 Depth=1
                                        ;     Parent Loop BB4_1005 Depth=2
                                        ; =>    This Inner Loop Header: Depth=3
	s_sleep 1
	s_waitcnt vmcnt(0) lgkmcnt(0)
	flat_load_dwordx2 v[32:33], v[22:23] glc
	s_or_b64 s[94:95], s[94:95], exec
	s_or_b64 s[92:93], s[92:93], exec
                                        ; implicit-def: $vgpr0
	s_and_saveexec_b64 s[30:31], vcc
	s_cbranch_execz .LBB4_1012
; %bb.1014:                             ;   in Loop: Header=BB4_1013 Depth=3
	s_cmpk_lt_i32 s8, 0x270f
	s_cselect_b64 s[38:39], -1, 0
	s_cmpk_gt_i32 s8, 0x270e
	s_mov_b64 s[34:35], -1
	s_cbranch_scc0 .LBB4_1016
; %bb.1015:                             ;   in Loop: Header=BB4_1013 Depth=3
	s_trap 2
	ds_read_b64 v[0:1], v0
	s_andn2_b64 s[38:39], s[38:39], exec
	s_mov_b32 s8, 0
	s_mov_b64 s[36:37], 0
	s_waitcnt vmcnt(0) lgkmcnt(0)
	flat_load_dword v0, v[0:1] glc
	s_waitcnt vmcnt(0) lgkmcnt(0)
	buffer_wbinvl1_vol
	v_cmp_eq_u32_e64 s[26:27], 0, v0
	s_and_b64 s[26:27], s[26:27], exec
	s_or_b64 s[38:39], s[38:39], s[26:27]
	s_and_saveexec_b64 s[48:49], s[38:39]
	s_cbranch_execz .LBB4_1011
	s_branch .LBB4_1010
.LBB4_1016:                             ;   in Loop: Header=BB4_1013 Depth=3
	s_add_i32 s8, s8, 1
	s_mov_b64 s[36:37], -1
                                        ; implicit-def: $vgpr0
	s_and_saveexec_b64 s[48:49], s[38:39]
	s_cbranch_execz .LBB4_1011
	s_branch .LBB4_1010
.LBB4_1017:                             ;   in Loop: Header=BB4_1005 Depth=2
	s_or_b64 exec, exec, s[88:89]
	s_xor_b64 s[26:27], s[90:91], -1
	s_and_saveexec_b64 s[88:89], s[26:27]
	s_xor_b64 s[26:27], exec, s[88:89]
	s_cbranch_execz .LBB4_1019
; %bb.1018:                             ;   in Loop: Header=BB4_1005 Depth=2
	v_or_b32_e32 v59, 64, v59
	s_waitcnt lgkmcnt(0)
	ds_write_b32 v0, v0
	s_trap 2
.LBB4_1019:                             ;   in Loop: Header=BB4_1005 Depth=2
	s_or_b64 exec, exec, s[26:27]
.LBB4_1020:                             ;   in Loop: Header=BB4_1005 Depth=2
	s_or_b64 exec, exec, s[78:79]
	v_and_b32_e32 v0, 0x100, v59
	v_cmp_ne_u32_e32 vcc, 0, v0
	v_and_b32_e32 v0, 7, v20
	s_mov_b64 s[26:27], -1
	;;#ASMSTART
	s_wakeup
	;;#ASMEND
                                        ; implicit-def: $vgpr10_vgpr11
	s_and_saveexec_b64 s[78:79], vcc
	s_cbranch_execz .LBB4_1024
; %bb.1021:                             ;   in Loop: Header=BB4_1005 Depth=2
	v_mad_u64_u32 v[12:13], s[26:27], v0, 24, v[16:17]
                                        ; implicit-def: $vgpr10_vgpr11
	flat_load_dword v1, v[12:13]
	s_waitcnt vmcnt(0) lgkmcnt(0)
	v_cmp_ne_u32_e32 vcc, 1, v1
	v_cmp_eq_u32_e64 s[26:27], 1, v1
	s_and_saveexec_b64 s[88:89], s[26:27]
	s_cbranch_execz .LBB4_1023
; %bb.1022:                             ;   in Loop: Header=BB4_1005 Depth=2
	flat_load_dword v10, v[12:13] offset:4 glc
	s_waitcnt vmcnt(0) lgkmcnt(0)
	v_ashrrev_i32_e32 v11, 31, v10
.LBB4_1023:                             ;   in Loop: Header=BB4_1005 Depth=2
	s_or_b64 exec, exec, s[88:89]
	s_orn2_b64 s[26:27], vcc, exec
.LBB4_1024:                             ;   in Loop: Header=BB4_1005 Depth=2
	s_or_b64 exec, exec, s[78:79]
	s_and_saveexec_b64 s[78:79], s[26:27]
; %bb.1025:                             ;   in Loop: Header=BB4_1005 Depth=2
	v_mad_i64_i32 v[10:11], s[26:27], v0, v61, 0
; %bb.1026:                             ;   in Loop: Header=BB4_1005 Depth=2
	s_or_b64 exec, exec, s[78:79]
	v_add_co_u32_e32 v0, vcc, v56, v10
	v_addc_co_u32_e32 v1, vcc, v57, v11, vcc
	ds_write_b64 v0, v[0:1] offset:720
	v_and_b32_e32 v0, 0x2000, v59
	v_cmp_ne_u32_e32 vcc, 0, v0
	s_and_saveexec_b64 s[26:27], vcc
	s_cbranch_execz .LBB4_1028
; %bb.1027:                             ;   in Loop: Header=BB4_1005 Depth=2
	ds_read_b64 v[0:1], v0 offset:872
	s_waitcnt lgkmcnt(0)
	v_add_co_u32_e32 v0, vcc, 1, v0
	v_addc_co_u32_e32 v1, vcc, 0, v1, vcc
	ds_write_b64 v0, v[0:1] offset:872
.LBB4_1028:                             ;   in Loop: Header=BB4_1005 Depth=2
	s_or_b64 exec, exec, s[26:27]
	v_mov_b32_e32 v21, v9
	v_mov_b32_e32 v20, v8
.LBB4_1029:                             ;   in Loop: Header=BB4_1005 Depth=2
	s_or_b64 exec, exec, s[76:77]
	s_and_saveexec_b64 s[26:27], s[10:11]
	s_cbranch_execz .LBB4_1048
; %bb.1030:                             ;   in Loop: Header=BB4_1005 Depth=2
	s_and_saveexec_b64 s[76:77], s[56:57]
	s_xor_b64 s[76:77], exec, s[76:77]
	s_cbranch_execz .LBB4_1045
; %bb.1031:                             ;   in Loop: Header=BB4_1005 Depth=2
	s_and_saveexec_b64 s[78:79], s[16:17]
	s_cbranch_execz .LBB4_1044
; %bb.1032:                             ;   in Loop: Header=BB4_1005 Depth=2
	s_mov_b64 s[90:91], exec
	v_mbcnt_lo_u32_b32 v0, s90, 0
	v_mbcnt_hi_u32_b32 v0, s91, v0
	v_cmp_eq_u32_e32 vcc, 0, v0
	s_waitcnt vmcnt(0) lgkmcnt(0)
	buffer_wbinvl1_vol
	s_and_saveexec_b64 s[88:89], vcc
	s_cbranch_execz .LBB4_1034
; %bb.1033:                             ;   in Loop: Header=BB4_1005 Depth=2
	s_bcnt1_i32_b64 s8, s[90:91]
	v_mov_b32_e32 v0, s8
	v_mov_b32_e32 v1, v34
	ds_add_u64 v0, v[0:1]
	s_trap 2
.LBB4_1034:                             ;   in Loop: Header=BB4_1005 Depth=2
	s_or_b64 exec, exec, s[88:89]
	s_trap 2
	ds_read_b64 v[0:1], v0
	s_waitcnt lgkmcnt(0)
	v_add_co_u32_e32 v28, vcc, v28, v39
	v_addc_co_u32_e32 v29, vcc, 0, v29, vcc
	v_cmp_lt_u64_e32 vcc, v[0:1], v[28:29]
	s_and_saveexec_b64 s[88:89], vcc
	s_cbranch_execz .LBB4_1043
; %bb.1035:                             ;   in Loop: Header=BB4_1005 Depth=2
	s_mov_b32 s8, 0
	s_mov_b64 s[90:91], 0
                                        ; implicit-def: $sgpr92_sgpr93
                                        ; implicit-def: $sgpr94_sgpr95
	s_branch .LBB4_1037
.LBB4_1036:                             ;   in Loop: Header=BB4_1037 Depth=3
	s_or_b64 exec, exec, s[34:35]
	s_and_b64 vcc, exec, vcc
	s_or_b64 s[90:91], vcc, s[90:91]
	s_andn2_b64 s[92:93], s[92:93], exec
	s_and_b64 vcc, s[94:95], exec
	s_or_b64 s[92:93], s[92:93], vcc
	s_andn2_b64 exec, exec, s[90:91]
	s_cbranch_execz .LBB4_1041
.LBB4_1037:                             ;   Parent Loop BB4_47 Depth=1
                                        ;     Parent Loop BB4_1005 Depth=2
                                        ; =>    This Inner Loop Header: Depth=3
	s_add_i32 s8, s8, 1
	s_cmpk_lg_i32 s8, 0x2710
	s_cselect_b64 s[30:31], -1, 0
	s_and_b64 vcc, exec, s[30:31]
	s_cbranch_vccz .LBB4_1039
; %bb.1038:                             ;   in Loop: Header=BB4_1037 Depth=3
	s_mov_b64 vcc, -1
	s_or_b64 s[94:95], s[94:95], exec
	s_and_saveexec_b64 s[34:35], s[30:31]
	s_cbranch_execz .LBB4_1036
	s_branch .LBB4_1040
.LBB4_1039:                             ;   in Loop: Header=BB4_1037 Depth=3
	s_trap 2
	ds_read_b64 v[0:1], v0
	s_andn2_b64 s[30:31], s[30:31], exec
	s_mov_b32 s8, 0
	s_waitcnt lgkmcnt(0)
	flat_load_dword v0, v[0:1] glc
	s_waitcnt vmcnt(0) lgkmcnt(0)
	buffer_wbinvl1_vol
	v_cmp_eq_u32_e32 vcc, 0, v0
	s_and_b64 vcc, vcc, exec
	s_or_b64 s[30:31], s[30:31], vcc
	s_mov_b64 vcc, -1
	s_or_b64 s[94:95], s[94:95], exec
	s_and_saveexec_b64 s[34:35], s[30:31]
	s_cbranch_execz .LBB4_1036
.LBB4_1040:                             ;   in Loop: Header=BB4_1037 Depth=3
	s_sleep 1
	s_trap 2
	ds_read_b64 v[0:1], v0
	s_waitcnt lgkmcnt(0)
	s_andn2_b64 s[94:95], s[94:95], exec
	v_cmp_ge_u64_e32 vcc, v[0:1], v[28:29]
	s_orn2_b64 vcc, vcc, exec
	s_branch .LBB4_1036
.LBB4_1041:                             ;   in Loop: Header=BB4_1005 Depth=2
	s_or_b64 exec, exec, s[90:91]
	s_and_saveexec_b64 s[90:91], s[92:93]
	s_xor_b64 s[90:91], exec, s[90:91]
	s_cbranch_execz .LBB4_1043
; %bb.1042:                             ;   in Loop: Header=BB4_1005 Depth=2
	ds_write_b32 v0, v45
	s_trap 2
.LBB4_1043:                             ;   in Loop: Header=BB4_1005 Depth=2
	s_or_b64 exec, exec, s[88:89]
	;;#ASMSTART
	s_wakeup
	;;#ASMEND
.LBB4_1044:                             ;   in Loop: Header=BB4_1005 Depth=2
	s_or_b64 exec, exec, s[78:79]
.LBB4_1045:                             ;   in Loop: Header=BB4_1005 Depth=2
	s_andn2_saveexec_b64 s[76:77], s[76:77]
	s_cbranch_execz .LBB4_1047
; %bb.1046:                             ;   in Loop: Header=BB4_1005 Depth=2
	s_waitcnt vmcnt(0) lgkmcnt(0)
	buffer_wbinvl1_vol
	s_barrier
.LBB4_1047:                             ;   in Loop: Header=BB4_1005 Depth=2
	s_or_b64 exec, exec, s[76:77]
.LBB4_1048:                             ;   in Loop: Header=BB4_1005 Depth=2
	s_or_b64 exec, exec, s[26:27]
	s_trap 2
	ds_read_b32 v0, v0
	v_and_b32_e32 v1, 0x4000, v59
	v_cmp_ne_u32_e32 vcc, 0, v1
	s_xor_b64 s[26:27], s[6:7], -1
	s_and_b64 s[76:77], s[26:27], vcc
	s_and_saveexec_b64 s[26:27], s[76:77]
	s_cbranch_execz .LBB4_1067
; %bb.1049:                             ;   in Loop: Header=BB4_1005 Depth=2
	s_and_saveexec_b64 s[76:77], s[56:57]
	s_xor_b64 s[76:77], exec, s[76:77]
	s_cbranch_execz .LBB4_1064
; %bb.1050:                             ;   in Loop: Header=BB4_1005 Depth=2
	s_and_saveexec_b64 s[78:79], s[16:17]
	s_cbranch_execz .LBB4_1063
; %bb.1051:                             ;   in Loop: Header=BB4_1005 Depth=2
	s_mov_b64 s[90:91], exec
	v_mbcnt_lo_u32_b32 v1, s90, 0
	v_mbcnt_hi_u32_b32 v1, s91, v1
	v_cmp_eq_u32_e32 vcc, 0, v1
	s_waitcnt vmcnt(0) lgkmcnt(0)
	buffer_wbinvl1_vol
	s_and_saveexec_b64 s[88:89], vcc
	s_cbranch_execz .LBB4_1053
; %bb.1052:                             ;   in Loop: Header=BB4_1005 Depth=2
	s_bcnt1_i32_b64 s8, s[90:91]
	v_mov_b32_e32 v5, s8
	v_mov_b32_e32 v6, v34
	ds_add_u64 v0, v[5:6]
	s_trap 2
.LBB4_1053:                             ;   in Loop: Header=BB4_1005 Depth=2
	s_or_b64 exec, exec, s[88:89]
	s_trap 2
	ds_read_b64 v[5:6], v0
	s_waitcnt lgkmcnt(0)
	v_add_co_u32_e32 v28, vcc, v28, v39
	v_addc_co_u32_e32 v29, vcc, 0, v29, vcc
	v_cmp_lt_u64_e32 vcc, v[5:6], v[28:29]
	s_and_saveexec_b64 s[88:89], vcc
	s_cbranch_execz .LBB4_1062
; %bb.1054:                             ;   in Loop: Header=BB4_1005 Depth=2
	s_mov_b32 s8, 0
	s_mov_b64 s[90:91], 0
                                        ; implicit-def: $sgpr92_sgpr93
                                        ; implicit-def: $sgpr94_sgpr95
	s_branch .LBB4_1056
.LBB4_1055:                             ;   in Loop: Header=BB4_1056 Depth=3
	s_or_b64 exec, exec, s[34:35]
	s_and_b64 vcc, exec, vcc
	s_or_b64 s[90:91], vcc, s[90:91]
	s_andn2_b64 s[92:93], s[92:93], exec
	s_and_b64 vcc, s[94:95], exec
	s_or_b64 s[92:93], s[92:93], vcc
	s_andn2_b64 exec, exec, s[90:91]
	s_cbranch_execz .LBB4_1060
.LBB4_1056:                             ;   Parent Loop BB4_47 Depth=1
                                        ;     Parent Loop BB4_1005 Depth=2
                                        ; =>    This Inner Loop Header: Depth=3
	s_add_i32 s8, s8, 1
	s_cmpk_lg_i32 s8, 0x2710
	s_cselect_b64 s[30:31], -1, 0
	s_and_b64 vcc, exec, s[30:31]
	s_cbranch_vccz .LBB4_1058
; %bb.1057:                             ;   in Loop: Header=BB4_1056 Depth=3
	s_mov_b64 vcc, -1
	s_or_b64 s[94:95], s[94:95], exec
	s_and_saveexec_b64 s[34:35], s[30:31]
	s_cbranch_execz .LBB4_1055
	s_branch .LBB4_1059
.LBB4_1058:                             ;   in Loop: Header=BB4_1056 Depth=3
	s_trap 2
	ds_read_b64 v[5:6], v0
	s_andn2_b64 s[30:31], s[30:31], exec
	s_mov_b32 s8, 0
	s_waitcnt lgkmcnt(0)
	flat_load_dword v1, v[5:6] glc
	s_waitcnt vmcnt(0) lgkmcnt(0)
	buffer_wbinvl1_vol
	v_cmp_eq_u32_e32 vcc, 0, v1
	s_and_b64 vcc, vcc, exec
	s_or_b64 s[30:31], s[30:31], vcc
	s_mov_b64 vcc, -1
	s_or_b64 s[94:95], s[94:95], exec
	s_and_saveexec_b64 s[34:35], s[30:31]
	s_cbranch_execz .LBB4_1055
.LBB4_1059:                             ;   in Loop: Header=BB4_1056 Depth=3
	s_sleep 1
	s_trap 2
	ds_read_b64 v[5:6], v0
	s_waitcnt lgkmcnt(0)
	s_andn2_b64 s[94:95], s[94:95], exec
	v_cmp_ge_u64_e32 vcc, v[5:6], v[28:29]
	s_orn2_b64 vcc, vcc, exec
	s_branch .LBB4_1055
.LBB4_1060:                             ;   in Loop: Header=BB4_1005 Depth=2
	s_or_b64 exec, exec, s[90:91]
	s_and_saveexec_b64 s[90:91], s[92:93]
	s_xor_b64 s[90:91], exec, s[90:91]
	s_cbranch_execz .LBB4_1062
; %bb.1061:                             ;   in Loop: Header=BB4_1005 Depth=2
	ds_write_b32 v0, v45
	s_trap 2
.LBB4_1062:                             ;   in Loop: Header=BB4_1005 Depth=2
	s_or_b64 exec, exec, s[88:89]
	;;#ASMSTART
	s_wakeup
	;;#ASMEND
.LBB4_1063:                             ;   in Loop: Header=BB4_1005 Depth=2
	s_or_b64 exec, exec, s[78:79]
.LBB4_1064:                             ;   in Loop: Header=BB4_1005 Depth=2
	s_andn2_saveexec_b64 s[76:77], s[76:77]
	s_cbranch_execz .LBB4_1066
; %bb.1065:                             ;   in Loop: Header=BB4_1005 Depth=2
	s_waitcnt vmcnt(0) lgkmcnt(0)
	buffer_wbinvl1_vol
	s_barrier
.LBB4_1066:                             ;   in Loop: Header=BB4_1005 Depth=2
	s_or_b64 exec, exec, s[76:77]
.LBB4_1067:                             ;   in Loop: Header=BB4_1005 Depth=2
	s_or_b64 exec, exec, s[26:27]
	s_trap 2
	s_waitcnt lgkmcnt(0)
	ds_read_b64 v[8:9], v0
	v_sub_u32_e32 v1, v3, v53
	v_min_i32_e32 v52, v52, v1
	s_waitcnt lgkmcnt(0)
	v_cmp_eq_u64_e32 vcc, 0, v[8:9]
	s_cbranch_vccnz .LBB4_1075
; %bb.1068:                             ;   in Loop: Header=BB4_1005 Depth=2
	s_trap 2
	ds_read_b64 v[10:11], v0
	s_waitcnt lgkmcnt(0)
	v_cmp_eq_u64_e32 vcc, 0, v[10:11]
	s_cbranch_vccnz .LBB4_1075
; %bb.1069:                             ;   in Loop: Header=BB4_1005 Depth=2
	s_mov_b64 s[26:27], -1
	s_and_saveexec_b64 s[76:77], s[20:21]
	s_cbranch_execz .LBB4_1071
; %bb.1070:                             ;   in Loop: Header=BB4_1005 Depth=2
	ds_read_b32 v1, v0 offset:720
	s_waitcnt lgkmcnt(0)
	v_and_b32_e32 v1, 15, v1
	v_cmp_eq_u32_e32 vcc, 0, v1
	s_orn2_b64 s[26:27], vcc, exec
.LBB4_1071:                             ;   in Loop: Header=BB4_1005 Depth=2
	s_or_b64 exec, exec, s[76:77]
	s_and_saveexec_b64 s[76:77], s[18:19]
	s_cbranch_execz .LBB4_1073
; %bb.1072:                             ;   in Loop: Header=BB4_1005 Depth=2
	ds_read_b32 v1, v0 offset:784
	s_waitcnt lgkmcnt(0)
	v_and_b32_e32 v1, 15, v1
	v_cmp_eq_u32_e32 vcc, 0, v1
	s_and_b64 s[78:79], s[26:27], vcc
	s_andn2_b64 s[26:27], s[26:27], exec
	s_and_b64 s[78:79], s[78:79], exec
	s_or_b64 s[26:27], s[26:27], s[78:79]
.LBB4_1073:                             ;   in Loop: Header=BB4_1005 Depth=2
	s_or_b64 exec, exec, s[76:77]
	v_cmp_eq_u32_e32 vcc, 0, v0
	s_xor_b64 s[26:27], s[26:27], -1
	v_cndmask_b32_e32 v0, 0, v52, vcc
	v_cndmask_b32_e64 v1, 0, 1, s[26:27]
	s_mov_b64 s[78:79], -1
	v_cmp_ne_u32_e32 vcc, 0, v1
	v_mov_b32_e32 v1, 0
	v_mov_b32_e32 v5, v0
	;; [unrolled: 1-line block ×3, first 2 shown]
	s_cbranch_vccz .LBB4_1080
; %bb.1074:                             ;   in Loop: Header=BB4_1005 Depth=2
	s_and_saveexec_b64 s[26:27], s[78:79]
	s_cbranch_execnz .LBB4_1091
	s_branch .LBB4_1099
.LBB4_1075:                             ;   in Loop: Header=BB4_1005 Depth=2
	s_mov_b64 s[26:27], 0
	s_and_saveexec_b64 s[76:77], s[10:11]
	s_cbranch_execnz .LBB4_1100
.LBB4_1076:                             ;   in Loop: Header=BB4_1005 Depth=2
	s_or_b64 exec, exec, s[76:77]
	s_and_saveexec_b64 s[76:77], s[24:25]
	s_xor_b64 s[76:77], exec, s[76:77]
	s_cbranch_execz .LBB4_1118
.LBB4_1077:                             ;   in Loop: Header=BB4_1005 Depth=2
	v_and_b32_e32 v0, 16, v59
	v_cmp_ne_u32_e32 vcc, 0, v0
	s_and_b64 s[78:79], vcc, s[26:27]
	s_and_saveexec_b64 s[26:27], s[78:79]
	s_cbranch_execz .LBB4_1079
; %bb.1078:                             ;   in Loop: Header=BB4_1005 Depth=2
	s_waitcnt vmcnt(0) lgkmcnt(0)
	buffer_wbinvl1_vol
.LBB4_1079:                             ;   in Loop: Header=BB4_1005 Depth=2
	s_or_b64 exec, exec, s[26:27]
	s_andn2_saveexec_b64 s[26:27], s[76:77]
	s_cbranch_execz .LBB4_1137
	s_branch .LBB4_1119
.LBB4_1080:                             ;   in Loop: Header=BB4_1005 Depth=2
	buffer_load_dword v2, off, s[0:3], s33 offset:124 ; 4-byte Folded Reload
	v_ashrrev_i32_e32 v1, 31, v0
	v_lshrrev_b32_e32 v1, 20, v1
	v_add_u32_e32 v1, v0, v1
	v_ashrrev_i32_e32 v1, 12, v1
	s_waitcnt vmcnt(0)
	v_sub_u32_e32 v19, v1, v2
	v_cmp_lt_i32_e32 vcc, 0, v19
	s_and_saveexec_b64 s[26:27], vcc
	s_cbranch_execz .LBB4_1084
; %bb.1081:                             ;   in Loop: Header=BB4_1005 Depth=2
	buffer_load_dword v7, off, s[0:3], s33 offset:196 ; 4-byte Folded Reload
	buffer_load_dword v16, off, s[0:3], s33 offset:148 ; 4-byte Folded Reload
	v_mov_b32_e32 v13, v11
	v_mov_b32_e32 v15, v9
	s_mov_b64 s[76:77], 0
	v_mov_b32_e32 v12, v10
	v_mov_b32_e32 v14, v8
	;; [unrolled: 1-line block ×3, first 2 shown]
.LBB4_1082:                             ;   Parent Loop BB4_47 Depth=1
                                        ;     Parent Loop BB4_1005 Depth=2
                                        ; =>    This Inner Loop Header: Depth=3
	s_waitcnt vmcnt(0)
	v_add_co_u32_e32 v5, vcc, v16, v14
	v_addc_co_u32_e32 v6, vcc, 0, v15, vcc
	global_load_dwordx4 v[24:27], v[5:6], off glc slc
	global_load_dwordx4 v[35:38], v[5:6], off offset:1024 glc slc
	global_load_dwordx4 v[48:51], v[5:6], off offset:2048 glc slc
	;; [unrolled: 1-line block ×3, first 2 shown]
	v_add_co_u32_e32 v5, vcc, v16, v12
	v_addc_co_u32_e32 v6, vcc, 0, v13, vcc
	v_add_co_u32_e32 v14, vcc, v14, v7
	v_addc_co_u32_e32 v15, vcc, 0, v15, vcc
	v_add_co_u32_e32 v12, vcc, v12, v7
	v_sub_u32_e32 v19, v19, v2
	v_addc_co_u32_e32 v13, vcc, 0, v13, vcc
	v_cmp_gt_i32_e32 vcc, 1, v19
	s_or_b64 s[76:77], vcc, s[76:77]
	s_waitcnt vmcnt(3)
	global_store_dwordx4 v[5:6], v[24:27], off glc slc
	s_waitcnt vmcnt(3)
	global_store_dwordx4 v[5:6], v[35:38], off offset:1024 glc slc
	s_waitcnt vmcnt(3)
	global_store_dwordx4 v[5:6], v[48:51], off offset:2048 glc slc
	;; [unrolled: 2-line block ×3, first 2 shown]
	s_andn2_b64 exec, exec, s[76:77]
	s_cbranch_execnz .LBB4_1082
; %bb.1083:                             ;   in Loop: Header=BB4_1005 Depth=2
	s_or_b64 exec, exec, s[76:77]
	buffer_load_dword v12, off, s[0:3], s33 offset:92 ; 4-byte Folded Reload
	buffer_load_dword v13, off, s[0:3], s33 offset:96 ; 4-byte Folded Reload
	;; [unrolled: 1-line block ×9, first 2 shown]
	v_mov_b32_e32 v39, v2
	s_waitcnt vmcnt(7)
	v_mov_b32_e32 v17, v13
	v_mov_b32_e32 v16, v12
.LBB4_1084:                             ;   in Loop: Header=BB4_1005 Depth=2
	s_or_b64 exec, exec, s[26:27]
	v_lshlrev_b32_e32 v13, 12, v1
	v_cmp_ne_u32_e32 vcc, v0, v13
	s_mov_b64 s[78:79], 0
	v_mov_b32_e32 v1, 0
                                        ; implicit-def: $vgpr5
                                        ; implicit-def: $vgpr12
	s_and_saveexec_b64 s[76:77], vcc
	s_cbranch_execz .LBB4_1090
; %bb.1085:                             ;   in Loop: Header=BB4_1005 Depth=2
	buffer_load_dword v5, off, s[0:3], s33 offset:160 ; 4-byte Folded Reload
	v_lshlrev_b32_e32 v1, 6, v19
	v_sub_u32_e32 v2, v0, v13
	s_waitcnt vmcnt(0)
	v_sub_u32_e32 v1, v5, v1
	v_ashrrev_i32_e32 v5, 31, v1
	v_lshrrev_b32_e32 v5, 26, v5
	v_add_u32_e32 v5, v1, v5
	v_ashrrev_i32_e32 v6, 6, v5
	v_and_b32_e32 v5, 0xffffffc0, v5
	v_sub_u32_e32 v12, v1, v5
	v_lshlrev_b32_e32 v1, 4, v12
	v_lshl_add_u32 v19, v6, 10, v1
	v_ashrrev_i32_e32 v1, 31, v2
	v_lshrrev_b32_e32 v1, 22, v1
	v_add_u32_e32 v1, v2, v1
	v_ashrrev_i32_e32 v7, 10, v1
	v_and_b32_e32 v1, 0xfffffc00, v1
	v_sub_u32_e32 v5, v2, v1
	v_cmp_lt_i32_e32 vcc, 15, v5
	v_sub_u32_e32 v15, v2, v19
	v_addc_co_u32_e64 v2, s[26:27], 0, v7, vcc
	v_sub_u32_e32 v14, v2, v6
	v_cmp_lt_i32_e64 s[26:27], 15, v15
	s_and_saveexec_b64 s[78:79], s[26:27]
	s_cbranch_execz .LBB4_1089
; %bb.1086:                             ;   in Loop: Header=BB4_1005 Depth=2
	v_add_u32_e32 v19, v19, v13
	v_ashrrev_i32_e32 v30, 31, v19
	s_mov_b64 s[88:89], 0
.LBB4_1087:                             ;   Parent Loop BB4_47 Depth=1
                                        ;     Parent Loop BB4_1005 Depth=2
                                        ; =>    This Inner Loop Header: Depth=3
	v_add_co_u32_e64 v24, s[26:27], v8, v19
	v_addc_co_u32_e64 v25, s[26:27], v9, v30, s[26:27]
	global_load_dwordx4 v[24:27], v[24:25], off glc slc
	v_add_co_u32_e64 v35, s[26:27], v10, v19
	v_addc_co_u32_e64 v36, s[26:27], v11, v30, s[26:27]
	v_add_co_u32_e64 v19, s[26:27], v19, v51
	v_sub_u32_e32 v15, v15, v51
	v_addc_co_u32_e64 v30, s[26:27], 0, v30, s[26:27]
	v_cmp_gt_i32_e64 s[26:27], 16, v15
	v_sub_u32_e32 v14, v14, v39
	s_or_b64 s[88:89], s[26:27], s[88:89]
	s_waitcnt vmcnt(0)
	global_store_dwordx4 v[35:36], v[24:27], off glc slc
	s_andn2_b64 exec, exec, s[88:89]
	s_cbranch_execnz .LBB4_1087
; %bb.1088:                             ;   in Loop: Header=BB4_1005 Depth=2
	s_or_b64 exec, exec, s[88:89]
	buffer_load_dword v16, off, s[0:3], s33 offset:92 ; 4-byte Folded Reload
	buffer_load_dword v17, off, s[0:3], s33 offset:96 ; 4-byte Folded Reload
	;; [unrolled: 1-line block ×6, first 2 shown]
.LBB4_1089:                             ;   in Loop: Header=BB4_1005 Depth=2
	s_or_b64 exec, exec, s[78:79]
	v_and_b32_e32 v2, 15, v0
	v_sub_u32_e32 v6, v5, v2
	v_cndmask_b32_e32 v6, 0, v6, vcc
	v_cndmask_b32_e32 v5, v5, v2, vcc
	v_cmp_lt_i32_e32 vcc, 0, v14
	v_cndmask_b32_e32 v2, 0, v39, vcc
	v_sub_u32_e32 v2, v2, v14
	v_cmp_ne_u32_e32 vcc, 0, v5
	v_add3_u32 v1, v1, v13, v6
	v_lshl_add_u32 v12, v2, 6, v12
	s_and_b64 s[78:79], vcc, exec
.LBB4_1090:                             ;   in Loop: Header=BB4_1005 Depth=2
	s_or_b64 exec, exec, s[76:77]
	s_and_saveexec_b64 s[26:27], s[78:79]
	s_cbranch_execz .LBB4_1099
.LBB4_1091:                             ;   in Loop: Header=BB4_1005 Depth=2
	v_ashrrev_i32_e32 v2, 31, v12
	v_lshrrev_b32_e32 v2, 26, v2
	s_waitcnt vmcnt(0)
	v_add_u32_e32 v19, v12, v2
	v_ashrrev_i32_e32 v2, 31, v5
	v_lshrrev_b32_e32 v2, 22, v2
	v_add_u32_e32 v2, v5, v2
	v_ashrrev_i32_e32 v13, 6, v19
	v_ashrrev_i32_e32 v15, 10, v2
	v_sub_u32_e32 v14, v15, v13
	v_cmp_lt_i32_e32 vcc, 0, v14
	s_and_saveexec_b64 s[76:77], vcc
	s_cbranch_execz .LBB4_1095
; %bb.1092:                             ;   in Loop: Header=BB4_1005 Depth=2
	v_and_b32_e32 v2, 0xffffffc0, v19
	v_sub_u32_e32 v2, v12, v2
	v_lshlrev_b32_e32 v6, 10, v13
	v_add3_u32 v19, v1, v2, v6
	v_mov_b32_e32 v49, v34
	v_ashrrev_i32_e32 v30, 31, v19
	s_mov_b64 s[78:79], 0
	v_mov_b32_e32 v50, v39
.LBB4_1093:                             ;   Parent Loop BB4_47 Depth=1
                                        ;     Parent Loop BB4_1005 Depth=2
                                        ; =>    This Inner Loop Header: Depth=3
	v_add_co_u32_e32 v24, vcc, v19, v8
	v_addc_co_u32_e32 v25, vcc, v30, v9, vcc
	flat_load_ubyte v2, v[24:25] glc slc
	flat_load_ubyte v6, v[24:25] offset:64 glc slc
	flat_load_ubyte v7, v[24:25] offset:128 glc slc
	;; [unrolled: 1-line block ×15, first 2 shown]
	v_add_co_u32_e32 v24, vcc, v19, v10
	v_addc_co_u32_e32 v25, vcc, v30, v11, vcc
	v_add_co_u32_e32 v8, vcc, v8, v51
	v_addc_co_u32_e32 v9, vcc, 0, v9, vcc
	v_add_co_u32_e32 v10, vcc, v10, v51
	v_sub_u32_e32 v14, v14, v50
	v_addc_co_u32_e32 v11, vcc, 0, v11, vcc
	v_cmp_gt_i32_e32 vcc, 1, v14
	s_or_b64 s[78:79], vcc, s[78:79]
	s_waitcnt vmcnt(0) lgkmcnt(0)
	flat_store_byte v[24:25], v2 glc slc
	flat_store_byte v[24:25], v6 offset:64 glc slc
	flat_store_byte v[24:25], v7 offset:128 glc slc
	;; [unrolled: 1-line block ×15, first 2 shown]
	s_andn2_b64 exec, exec, s[78:79]
	s_cbranch_execnz .LBB4_1093
; %bb.1094:                             ;   in Loop: Header=BB4_1005 Depth=2
	s_or_b64 exec, exec, s[78:79]
	buffer_load_dword v16, off, s[0:3], s33 offset:92 ; 4-byte Folded Reload
	buffer_load_dword v17, off, s[0:3], s33 offset:96 ; 4-byte Folded Reload
	;; [unrolled: 1-line block ×8, first 2 shown]
	v_mov_b32_e32 v34, v49
	v_mov_b32_e32 v39, v50
.LBB4_1095:                             ;   in Loop: Header=BB4_1005 Depth=2
	s_or_b64 exec, exec, s[76:77]
	v_lshlrev_b32_e32 v8, 10, v15
	v_cmp_ne_u32_e32 vcc, v5, v8
	s_and_b64 exec, exec, vcc
	s_cbranch_execz .LBB4_1099
; %bb.1096:                             ;   in Loop: Header=BB4_1005 Depth=2
	v_lshlrev_b32_e32 v2, 6, v13
	v_sub_u32_e32 v2, v12, v2
	v_lshlrev_b32_e32 v6, 6, v14
	v_sub_u32_e32 v2, v2, v6
	v_add_u32_e32 v8, v8, v2
	v_sub_u32_e32 v5, v5, v8
	v_cmp_lt_i32_e32 vcc, 0, v5
	s_and_b64 exec, exec, vcc
	s_cbranch_execz .LBB4_1099
; %bb.1097:                             ;   in Loop: Header=BB4_1005 Depth=2
	v_add_u32_e32 v1, v8, v1
	s_trap 2
	ds_read_b64 v[8:9], v0
	v_ashrrev_i32_e32 v10, 31, v1
	s_mov_b64 s[76:77], 0
.LBB4_1098:                             ;   Parent Loop BB4_47 Depth=1
                                        ;     Parent Loop BB4_1005 Depth=2
                                        ; =>    This Inner Loop Header: Depth=3
	s_waitcnt lgkmcnt(0)
	v_add_co_u32_e32 v11, vcc, v8, v1
	v_addc_co_u32_e32 v12, vcc, v9, v10, vcc
	flat_load_ubyte v2, v[11:12] glc slc
	s_waitcnt vmcnt(0)
	v_add_co_u32_e32 v1, vcc, v1, v31
	v_sub_u32_e32 v5, v5, v31
	v_addc_co_u32_e32 v10, vcc, 0, v10, vcc
	v_cmp_gt_i32_e32 vcc, 1, v5
	s_or_b64 s[76:77], vcc, s[76:77]
	s_waitcnt lgkmcnt(0)
	flat_store_byte v[11:12], v2 glc slc
	s_andn2_b64 exec, exec, s[76:77]
	s_cbranch_execnz .LBB4_1098
.LBB4_1099:                             ;   in Loop: Header=BB4_1005 Depth=2
	s_or_b64 exec, exec, s[26:27]
	v_cmp_lt_i32_e64 s[26:27], 0, v0
	s_and_saveexec_b64 s[76:77], s[10:11]
	s_cbranch_execz .LBB4_1076
.LBB4_1100:                             ;   in Loop: Header=BB4_1005 Depth=2
	s_and_saveexec_b64 s[78:79], s[56:57]
	s_xor_b64 s[78:79], exec, s[78:79]
	s_cbranch_execz .LBB4_1115
; %bb.1101:                             ;   in Loop: Header=BB4_1005 Depth=2
	s_and_saveexec_b64 s[88:89], s[16:17]
	s_cbranch_execz .LBB4_1114
; %bb.1102:                             ;   in Loop: Header=BB4_1005 Depth=2
	s_mov_b64 s[92:93], exec
	v_mbcnt_lo_u32_b32 v0, s92, 0
	v_mbcnt_hi_u32_b32 v0, s93, v0
	v_cmp_eq_u32_e32 vcc, 0, v0
	s_waitcnt vmcnt(0) lgkmcnt(0)
	buffer_wbinvl1_vol
	s_and_saveexec_b64 s[90:91], vcc
	s_cbranch_execz .LBB4_1104
; %bb.1103:                             ;   in Loop: Header=BB4_1005 Depth=2
	s_bcnt1_i32_b64 s8, s[92:93]
	v_mov_b32_e32 v0, s8
	v_mov_b32_e32 v1, v34
	ds_add_u64 v0, v[0:1]
	s_trap 2
.LBB4_1104:                             ;   in Loop: Header=BB4_1005 Depth=2
	s_or_b64 exec, exec, s[90:91]
	s_trap 2
	ds_read_b64 v[0:1], v0
	s_waitcnt lgkmcnt(0)
	v_add_co_u32_e32 v28, vcc, v28, v39
	v_addc_co_u32_e32 v29, vcc, 0, v29, vcc
	v_cmp_lt_u64_e32 vcc, v[0:1], v[28:29]
	s_and_saveexec_b64 s[90:91], vcc
	s_cbranch_execz .LBB4_1113
; %bb.1105:                             ;   in Loop: Header=BB4_1005 Depth=2
	s_mov_b32 s8, 0
	s_mov_b64 s[92:93], 0
                                        ; implicit-def: $sgpr94_sgpr95
                                        ; implicit-def: $sgpr30_sgpr31
	s_branch .LBB4_1107
.LBB4_1106:                             ;   in Loop: Header=BB4_1107 Depth=3
	s_or_b64 exec, exec, s[36:37]
	s_and_b64 vcc, exec, vcc
	s_or_b64 s[92:93], vcc, s[92:93]
	s_andn2_b64 s[94:95], s[94:95], exec
	s_and_b64 vcc, s[30:31], exec
	s_or_b64 s[94:95], s[94:95], vcc
	s_andn2_b64 exec, exec, s[92:93]
	s_cbranch_execz .LBB4_1111
.LBB4_1107:                             ;   Parent Loop BB4_47 Depth=1
                                        ;     Parent Loop BB4_1005 Depth=2
                                        ; =>    This Inner Loop Header: Depth=3
	s_add_i32 s8, s8, 1
	s_cmpk_lg_i32 s8, 0x2710
	s_cselect_b64 s[34:35], -1, 0
	s_and_b64 vcc, exec, s[34:35]
	s_cbranch_vccz .LBB4_1109
; %bb.1108:                             ;   in Loop: Header=BB4_1107 Depth=3
	s_mov_b64 vcc, -1
	s_or_b64 s[30:31], s[30:31], exec
	s_and_saveexec_b64 s[36:37], s[34:35]
	s_cbranch_execz .LBB4_1106
	s_branch .LBB4_1110
.LBB4_1109:                             ;   in Loop: Header=BB4_1107 Depth=3
	s_trap 2
	ds_read_b64 v[0:1], v0
	s_andn2_b64 s[34:35], s[34:35], exec
	s_mov_b32 s8, 0
	s_waitcnt lgkmcnt(0)
	flat_load_dword v0, v[0:1] glc
	s_waitcnt vmcnt(0) lgkmcnt(0)
	buffer_wbinvl1_vol
	v_cmp_eq_u32_e32 vcc, 0, v0
	s_and_b64 vcc, vcc, exec
	s_or_b64 s[34:35], s[34:35], vcc
	s_mov_b64 vcc, -1
	s_or_b64 s[30:31], s[30:31], exec
	s_and_saveexec_b64 s[36:37], s[34:35]
	s_cbranch_execz .LBB4_1106
.LBB4_1110:                             ;   in Loop: Header=BB4_1107 Depth=3
	s_sleep 1
	s_trap 2
	ds_read_b64 v[0:1], v0
	s_waitcnt lgkmcnt(0)
	s_andn2_b64 s[30:31], s[30:31], exec
	v_cmp_ge_u64_e32 vcc, v[0:1], v[28:29]
	s_orn2_b64 vcc, vcc, exec
	s_branch .LBB4_1106
.LBB4_1111:                             ;   in Loop: Header=BB4_1005 Depth=2
	s_or_b64 exec, exec, s[92:93]
	s_and_saveexec_b64 s[92:93], s[94:95]
	s_xor_b64 s[92:93], exec, s[92:93]
	s_cbranch_execz .LBB4_1113
; %bb.1112:                             ;   in Loop: Header=BB4_1005 Depth=2
	ds_write_b32 v0, v45
	s_trap 2
.LBB4_1113:                             ;   in Loop: Header=BB4_1005 Depth=2
	s_or_b64 exec, exec, s[90:91]
	;;#ASMSTART
	s_wakeup
	;;#ASMEND
.LBB4_1114:                             ;   in Loop: Header=BB4_1005 Depth=2
	s_or_b64 exec, exec, s[88:89]
.LBB4_1115:                             ;   in Loop: Header=BB4_1005 Depth=2
	s_andn2_saveexec_b64 s[78:79], s[78:79]
	s_cbranch_execz .LBB4_1117
; %bb.1116:                             ;   in Loop: Header=BB4_1005 Depth=2
	s_waitcnt vmcnt(0) lgkmcnt(0)
	buffer_wbinvl1_vol
	s_barrier
.LBB4_1117:                             ;   in Loop: Header=BB4_1005 Depth=2
	s_or_b64 exec, exec, s[78:79]
	s_or_b64 exec, exec, s[76:77]
	s_and_saveexec_b64 s[76:77], s[24:25]
	s_xor_b64 s[76:77], exec, s[76:77]
	s_cbranch_execnz .LBB4_1077
.LBB4_1118:                             ;   in Loop: Header=BB4_1005 Depth=2
	s_andn2_saveexec_b64 s[26:27], s[76:77]
	s_cbranch_execz .LBB4_1137
.LBB4_1119:                             ;   in Loop: Header=BB4_1005 Depth=2
	s_and_saveexec_b64 s[76:77], s[56:57]
	s_xor_b64 s[76:77], exec, s[76:77]
	s_cbranch_execz .LBB4_1134
; %bb.1120:                             ;   in Loop: Header=BB4_1005 Depth=2
	s_and_saveexec_b64 s[78:79], s[16:17]
	s_cbranch_execz .LBB4_1133
; %bb.1121:                             ;   in Loop: Header=BB4_1005 Depth=2
	s_mov_b64 s[90:91], exec
	v_mbcnt_lo_u32_b32 v0, s90, 0
	v_mbcnt_hi_u32_b32 v0, s91, v0
	v_cmp_eq_u32_e32 vcc, 0, v0
	;;#ASMSTART
	s_waitcnt lgkmcnt(0) vmcnt(0)
	;;#ASMEND
	s_and_saveexec_b64 s[88:89], vcc
	s_cbranch_execz .LBB4_1123
; %bb.1122:                             ;   in Loop: Header=BB4_1005 Depth=2
	s_bcnt1_i32_b64 s8, s[90:91]
	v_mov_b32_e32 v0, s8
	v_mov_b32_e32 v1, v34
	s_waitcnt lgkmcnt(0)
	ds_add_u64 v0, v[0:1]
	s_trap 2
.LBB4_1123:                             ;   in Loop: Header=BB4_1005 Depth=2
	s_or_b64 exec, exec, s[88:89]
	s_trap 2
	ds_read_b64 v[0:1], v0
	s_waitcnt lgkmcnt(0)
	v_add_co_u32_e32 v28, vcc, v28, v39
	v_addc_co_u32_e32 v29, vcc, 0, v29, vcc
	v_cmp_lt_u64_e32 vcc, v[0:1], v[28:29]
	s_and_saveexec_b64 s[88:89], vcc
	s_cbranch_execz .LBB4_1132
; %bb.1124:                             ;   in Loop: Header=BB4_1005 Depth=2
	s_mov_b32 s8, 0
	s_mov_b64 s[90:91], 0
                                        ; implicit-def: $sgpr92_sgpr93
                                        ; implicit-def: $sgpr94_sgpr95
	s_branch .LBB4_1126
.LBB4_1125:                             ;   in Loop: Header=BB4_1126 Depth=3
	s_or_b64 exec, exec, s[34:35]
	s_and_b64 vcc, exec, vcc
	s_or_b64 s[90:91], vcc, s[90:91]
	s_andn2_b64 s[92:93], s[92:93], exec
	s_and_b64 vcc, s[94:95], exec
	s_or_b64 s[92:93], s[92:93], vcc
	s_andn2_b64 exec, exec, s[90:91]
	s_cbranch_execz .LBB4_1130
.LBB4_1126:                             ;   Parent Loop BB4_47 Depth=1
                                        ;     Parent Loop BB4_1005 Depth=2
                                        ; =>    This Inner Loop Header: Depth=3
	s_add_i32 s8, s8, 1
	s_cmpk_lg_i32 s8, 0x2710
	s_cselect_b64 s[30:31], -1, 0
	s_and_b64 vcc, exec, s[30:31]
	s_cbranch_vccz .LBB4_1128
; %bb.1127:                             ;   in Loop: Header=BB4_1126 Depth=3
	s_mov_b64 vcc, -1
	s_or_b64 s[94:95], s[94:95], exec
	s_and_saveexec_b64 s[34:35], s[30:31]
	s_cbranch_execz .LBB4_1125
	s_branch .LBB4_1129
.LBB4_1128:                             ;   in Loop: Header=BB4_1126 Depth=3
	s_trap 2
	ds_read_b64 v[0:1], v0
	s_andn2_b64 s[30:31], s[30:31], exec
	s_mov_b32 s8, 0
	s_waitcnt vmcnt(0) lgkmcnt(0)
	flat_load_dword v0, v[0:1] glc
	s_waitcnt vmcnt(0) lgkmcnt(0)
	buffer_wbinvl1_vol
	v_cmp_eq_u32_e32 vcc, 0, v0
	s_and_b64 vcc, vcc, exec
	s_or_b64 s[30:31], s[30:31], vcc
	s_mov_b64 vcc, -1
	s_or_b64 s[94:95], s[94:95], exec
	s_and_saveexec_b64 s[34:35], s[30:31]
	s_cbranch_execz .LBB4_1125
.LBB4_1129:                             ;   in Loop: Header=BB4_1126 Depth=3
	s_sleep 1
	s_trap 2
	ds_read_b64 v[0:1], v0
	s_waitcnt lgkmcnt(0)
	s_andn2_b64 s[94:95], s[94:95], exec
	v_cmp_ge_u64_e32 vcc, v[0:1], v[28:29]
	s_orn2_b64 vcc, vcc, exec
	s_branch .LBB4_1125
.LBB4_1130:                             ;   in Loop: Header=BB4_1005 Depth=2
	s_or_b64 exec, exec, s[90:91]
	s_and_saveexec_b64 s[90:91], s[92:93]
	s_xor_b64 s[90:91], exec, s[90:91]
	s_cbranch_execz .LBB4_1132
; %bb.1131:                             ;   in Loop: Header=BB4_1005 Depth=2
	ds_write_b32 v0, v45
	s_trap 2
.LBB4_1132:                             ;   in Loop: Header=BB4_1005 Depth=2
	s_or_b64 exec, exec, s[88:89]
	;;#ASMSTART
	s_wakeup
	;;#ASMEND
.LBB4_1133:                             ;   in Loop: Header=BB4_1005 Depth=2
	s_or_b64 exec, exec, s[78:79]
.LBB4_1134:                             ;   in Loop: Header=BB4_1005 Depth=2
	s_andn2_saveexec_b64 s[76:77], s[76:77]
	s_cbranch_execz .LBB4_1136
; %bb.1135:                             ;   in Loop: Header=BB4_1005 Depth=2
	;;#ASMSTART
	s_waitcnt lgkmcnt(0) vmcnt(0)
	;;#ASMEND
	s_waitcnt vmcnt(0) lgkmcnt(0)
	s_barrier
.LBB4_1136:                             ;   in Loop: Header=BB4_1005 Depth=2
	s_or_b64 exec, exec, s[76:77]
.LBB4_1137:                             ;   in Loop: Header=BB4_1005 Depth=2
	s_or_b64 exec, exec, s[26:27]
	v_and_b32_e32 v0, 32, v59
	v_cmp_ne_u32_e32 vcc, 0, v0
	s_and_saveexec_b64 s[26:27], vcc
	s_cbranch_execz .LBB4_1004
; %bb.1138:                             ;   in Loop: Header=BB4_1005 Depth=2
	v_add_co_u32_e32 v20, vcc, 2, v20
	v_addc_co_u32_e32 v21, vcc, 0, v21, vcc
	flat_store_dwordx2 v[22:23], v[20:21]
	s_branch .LBB4_1004
.LBB4_1139:                             ;   in Loop: Header=BB4_47 Depth=1
	s_or_b64 exec, exec, s[40:41]
.LBB4_1140:                             ;   in Loop: Header=BB4_47 Depth=1
	s_or_b64 exec, exec, s[28:29]
	v_mov_b32_e32 v50, 0xc8
	v_mov_b32_e32 v54, 0x90
	v_cmp_gt_i32_e32 vcc, 2, v0
	s_and_saveexec_b64 s[28:29], vcc
	s_cbranch_execz .LBB4_46
; %bb.1141:                             ;   in Loop: Header=BB4_47 Depth=1
	v_cmp_eq_u32_e64 s[42:43], 0, v0
	s_mov_b64 s[40:41], 0
	s_branch .LBB4_1143
.LBB4_1142:                             ;   in Loop: Header=BB4_1143 Depth=2
	s_or_b64 exec, exec, s[26:27]
	v_add_u32_e32 v53, v52, v53
	s_mov_b64 s[42:43], 0
	s_andn2_b64 exec, exec, s[40:41]
	s_cbranch_execz .LBB4_45
.LBB4_1143:                             ;   Parent Loop BB4_47 Depth=1
                                        ; =>  This Loop Header: Depth=2
                                        ;       Child Loop BB4_1149 Depth 3
                                        ;       Child Loop BB4_1173 Depth 3
	;; [unrolled: 1-line block ×3, first 2 shown]
	v_and_b32_e32 v0, 4, v59
	v_cmp_ne_u32_e32 vcc, 0, v0
	s_and_saveexec_b64 s[76:77], vcc
	s_cbranch_execz .LBB4_1165
; %bb.1144:                             ;   in Loop: Header=BB4_1143 Depth=2
	v_add_co_u32_e32 v8, vcc, 2, v20
	v_addc_co_u32_e32 v9, vcc, 0, v21, vcc
	s_waitcnt vmcnt(0) lgkmcnt(0)
	v_cmp_lt_u64_e32 vcc, v[32:33], v[8:9]
	s_and_saveexec_b64 s[78:79], vcc
	s_cbranch_execz .LBB4_1156
; %bb.1145:                             ;   in Loop: Header=BB4_1143 Depth=2
	v_and_b32_e32 v0, 64, v59
	s_mov_b32 s8, 0
	v_cmp_eq_u32_e32 vcc, 0, v0
	s_mov_b64 s[88:89], 0
                                        ; implicit-def: $sgpr90_sgpr91
                                        ; implicit-def: $sgpr92_sgpr93
                                        ; implicit-def: $sgpr94_sgpr95
	s_branch .LBB4_1149
.LBB4_1146:                             ;   in Loop: Header=BB4_1149 Depth=3
	s_waitcnt vmcnt(0) lgkmcnt(0)
	v_cmp_ge_u64_e64 s[26:27], v[32:33], v[8:9]
	s_or_b64 s[36:37], s[36:37], exec
	s_orn2_b64 s[34:35], s[26:27], exec
.LBB4_1147:                             ;   in Loop: Header=BB4_1149 Depth=3
	s_or_b64 exec, exec, s[48:49]
	s_andn2_b64 s[26:27], s[94:95], exec
	s_and_b64 s[94:95], s[36:37], exec
	s_or_b64 s[94:95], s[26:27], s[94:95]
	s_andn2_b64 s[26:27], s[92:93], exec
	s_and_b64 s[92:93], s[34:35], exec
	s_or_b64 s[92:93], s[26:27], s[92:93]
.LBB4_1148:                             ;   in Loop: Header=BB4_1149 Depth=3
	s_or_b64 exec, exec, s[30:31]
	s_and_b64 s[26:27], exec, s[92:93]
	s_or_b64 s[88:89], s[26:27], s[88:89]
	s_andn2_b64 s[26:27], s[90:91], exec
	s_and_b64 s[90:91], s[94:95], exec
	s_or_b64 s[90:91], s[26:27], s[90:91]
	s_andn2_b64 exec, exec, s[88:89]
	s_cbranch_execz .LBB4_1153
.LBB4_1149:                             ;   Parent Loop BB4_47 Depth=1
                                        ;     Parent Loop BB4_1143 Depth=2
                                        ; =>    This Inner Loop Header: Depth=3
	s_sleep 1
	s_waitcnt vmcnt(0) lgkmcnt(0)
	flat_load_dwordx2 v[32:33], v[22:23] glc
	s_or_b64 s[94:95], s[94:95], exec
	s_or_b64 s[92:93], s[92:93], exec
                                        ; implicit-def: $vgpr0
	s_and_saveexec_b64 s[30:31], vcc
	s_cbranch_execz .LBB4_1148
; %bb.1150:                             ;   in Loop: Header=BB4_1149 Depth=3
	s_cmpk_lt_i32 s8, 0x270f
	s_cselect_b64 s[38:39], -1, 0
	s_cmpk_gt_i32 s8, 0x270e
	s_mov_b64 s[34:35], -1
	s_cbranch_scc0 .LBB4_1152
; %bb.1151:                             ;   in Loop: Header=BB4_1149 Depth=3
	s_trap 2
	ds_read_b64 v[0:1], v0
	s_andn2_b64 s[38:39], s[38:39], exec
	s_mov_b32 s8, 0
	s_mov_b64 s[36:37], 0
	s_waitcnt vmcnt(0) lgkmcnt(0)
	flat_load_dword v0, v[0:1] glc
	s_waitcnt vmcnt(0) lgkmcnt(0)
	buffer_wbinvl1_vol
	v_cmp_eq_u32_e64 s[26:27], 0, v0
	s_and_b64 s[26:27], s[26:27], exec
	s_or_b64 s[38:39], s[38:39], s[26:27]
	s_and_saveexec_b64 s[48:49], s[38:39]
	s_cbranch_execz .LBB4_1147
	s_branch .LBB4_1146
.LBB4_1152:                             ;   in Loop: Header=BB4_1149 Depth=3
	s_add_i32 s8, s8, 1
	s_mov_b64 s[36:37], -1
                                        ; implicit-def: $vgpr0
	s_and_saveexec_b64 s[48:49], s[38:39]
	s_cbranch_execz .LBB4_1147
	s_branch .LBB4_1146
.LBB4_1153:                             ;   in Loop: Header=BB4_1143 Depth=2
	s_or_b64 exec, exec, s[88:89]
	s_xor_b64 s[8:9], s[90:91], -1
	s_and_saveexec_b64 s[26:27], s[8:9]
	s_xor_b64 s[26:27], exec, s[26:27]
	s_cbranch_execz .LBB4_1155
; %bb.1154:                             ;   in Loop: Header=BB4_1143 Depth=2
	v_or_b32_e32 v59, 64, v59
	s_waitcnt lgkmcnt(0)
	ds_write_b32 v0, v0
	s_trap 2
.LBB4_1155:                             ;   in Loop: Header=BB4_1143 Depth=2
	s_or_b64 exec, exec, s[26:27]
.LBB4_1156:                             ;   in Loop: Header=BB4_1143 Depth=2
	s_or_b64 exec, exec, s[78:79]
	v_and_b32_e32 v0, 0x100, v59
	v_cmp_ne_u32_e32 vcc, 0, v0
	v_and_b32_e32 v0, 7, v20
	s_mov_b64 s[26:27], -1
	;;#ASMSTART
	s_wakeup
	;;#ASMEND
                                        ; implicit-def: $vgpr10_vgpr11
	s_and_saveexec_b64 s[78:79], vcc
	s_cbranch_execz .LBB4_1160
; %bb.1157:                             ;   in Loop: Header=BB4_1143 Depth=2
	v_mad_u64_u32 v[12:13], s[8:9], v0, 24, v[16:17]
                                        ; implicit-def: $vgpr10_vgpr11
	flat_load_dword v1, v[12:13]
	s_waitcnt vmcnt(0) lgkmcnt(0)
	v_cmp_ne_u32_e32 vcc, 1, v1
	v_cmp_eq_u32_e64 s[26:27], 1, v1
	s_and_saveexec_b64 s[88:89], s[26:27]
	s_cbranch_execz .LBB4_1159
; %bb.1158:                             ;   in Loop: Header=BB4_1143 Depth=2
	flat_load_dword v10, v[12:13] offset:4 glc
	s_waitcnt vmcnt(0) lgkmcnt(0)
	v_ashrrev_i32_e32 v11, 31, v10
.LBB4_1159:                             ;   in Loop: Header=BB4_1143 Depth=2
	s_or_b64 exec, exec, s[88:89]
	s_orn2_b64 s[26:27], vcc, exec
.LBB4_1160:                             ;   in Loop: Header=BB4_1143 Depth=2
	s_or_b64 exec, exec, s[78:79]
	s_and_saveexec_b64 s[78:79], s[26:27]
; %bb.1161:                             ;   in Loop: Header=BB4_1143 Depth=2
	v_mad_i64_i32 v[10:11], s[8:9], v0, v61, 0
; %bb.1162:                             ;   in Loop: Header=BB4_1143 Depth=2
	s_or_b64 exec, exec, s[78:79]
	v_add_co_u32_e32 v0, vcc, v56, v10
	v_addc_co_u32_e32 v1, vcc, v57, v11, vcc
	ds_write_b64 v0, v[0:1] offset:720
	v_and_b32_e32 v0, 0x2000, v59
	v_cmp_ne_u32_e32 vcc, 0, v0
	s_and_saveexec_b64 s[26:27], vcc
	s_cbranch_execz .LBB4_1164
; %bb.1163:                             ;   in Loop: Header=BB4_1143 Depth=2
	ds_read_b64 v[0:1], v0 offset:872
	s_waitcnt lgkmcnt(0)
	v_add_co_u32_e32 v0, vcc, 1, v0
	v_addc_co_u32_e32 v1, vcc, 0, v1, vcc
	ds_write_b64 v0, v[0:1] offset:872
.LBB4_1164:                             ;   in Loop: Header=BB4_1143 Depth=2
	s_or_b64 exec, exec, s[26:27]
	v_mov_b32_e32 v21, v9
	v_mov_b32_e32 v20, v8
.LBB4_1165:                             ;   in Loop: Header=BB4_1143 Depth=2
	s_or_b64 exec, exec, s[76:77]
	s_xor_b64 s[8:9], s[42:43], -1
	s_and_b64 s[8:9], exec, s[8:9]
	s_or_b64 s[40:41], s[8:9], s[40:41]
	s_and_saveexec_b64 s[26:27], s[10:11]
	s_cbranch_execz .LBB4_1184
; %bb.1166:                             ;   in Loop: Header=BB4_1143 Depth=2
	s_and_saveexec_b64 s[8:9], s[56:57]
	s_xor_b64 s[42:43], exec, s[8:9]
	s_cbranch_execz .LBB4_1181
; %bb.1167:                             ;   in Loop: Header=BB4_1143 Depth=2
	s_and_saveexec_b64 s[76:77], s[16:17]
	s_cbranch_execz .LBB4_1180
; %bb.1168:                             ;   in Loop: Header=BB4_1143 Depth=2
	s_mov_b64 s[88:89], exec
	v_mbcnt_lo_u32_b32 v0, s88, 0
	v_mbcnt_hi_u32_b32 v0, s89, v0
	v_cmp_eq_u32_e32 vcc, 0, v0
	s_waitcnt vmcnt(0) lgkmcnt(0)
	buffer_wbinvl1_vol
	s_and_saveexec_b64 s[78:79], vcc
	s_cbranch_execz .LBB4_1170
; %bb.1169:                             ;   in Loop: Header=BB4_1143 Depth=2
	s_bcnt1_i32_b64 s8, s[88:89]
	v_mov_b32_e32 v0, s8
	v_mov_b32_e32 v1, v34
	ds_add_u64 v0, v[0:1]
	s_trap 2
.LBB4_1170:                             ;   in Loop: Header=BB4_1143 Depth=2
	s_or_b64 exec, exec, s[78:79]
	s_trap 2
	ds_read_b64 v[0:1], v0
	s_waitcnt lgkmcnt(0)
	v_add_co_u32_e32 v28, vcc, v28, v39
	v_addc_co_u32_e32 v29, vcc, 0, v29, vcc
	v_cmp_lt_u64_e32 vcc, v[0:1], v[28:29]
	s_and_saveexec_b64 s[78:79], vcc
	s_cbranch_execz .LBB4_1179
; %bb.1171:                             ;   in Loop: Header=BB4_1143 Depth=2
	s_mov_b32 s8, 0
	s_mov_b64 s[88:89], 0
                                        ; implicit-def: $sgpr90_sgpr91
                                        ; implicit-def: $sgpr92_sgpr93
	s_branch .LBB4_1173
.LBB4_1172:                             ;   in Loop: Header=BB4_1173 Depth=3
	s_or_b64 exec, exec, s[30:31]
	s_and_b64 s[94:95], exec, vcc
	s_or_b64 s[88:89], s[94:95], s[88:89]
	s_andn2_b64 s[90:91], s[90:91], exec
	s_and_b64 s[94:95], s[92:93], exec
	s_or_b64 s[90:91], s[90:91], s[94:95]
	s_andn2_b64 exec, exec, s[88:89]
	s_cbranch_execz .LBB4_1177
.LBB4_1173:                             ;   Parent Loop BB4_47 Depth=1
                                        ;     Parent Loop BB4_1143 Depth=2
                                        ; =>    This Inner Loop Header: Depth=3
	s_add_i32 s8, s8, 1
	s_cmpk_lg_i32 s8, 0x2710
	s_cselect_b64 s[94:95], -1, 0
	s_and_b64 vcc, exec, s[94:95]
	s_cbranch_vccz .LBB4_1175
; %bb.1174:                             ;   in Loop: Header=BB4_1173 Depth=3
	s_mov_b64 vcc, -1
	s_or_b64 s[92:93], s[92:93], exec
	s_and_saveexec_b64 s[30:31], s[94:95]
	s_cbranch_execz .LBB4_1172
	s_branch .LBB4_1176
.LBB4_1175:                             ;   in Loop: Header=BB4_1173 Depth=3
	s_trap 2
	ds_read_b64 v[0:1], v0
	s_andn2_b64 s[94:95], s[94:95], exec
	s_mov_b32 s8, 0
	s_waitcnt lgkmcnt(0)
	flat_load_dword v0, v[0:1] glc
	s_waitcnt vmcnt(0) lgkmcnt(0)
	buffer_wbinvl1_vol
	v_cmp_eq_u32_e32 vcc, 0, v0
	s_and_b64 vcc, vcc, exec
	s_or_b64 s[94:95], s[94:95], vcc
	s_mov_b64 vcc, -1
	s_or_b64 s[92:93], s[92:93], exec
	s_and_saveexec_b64 s[30:31], s[94:95]
	s_cbranch_execz .LBB4_1172
.LBB4_1176:                             ;   in Loop: Header=BB4_1173 Depth=3
	s_sleep 1
	s_trap 2
	ds_read_b64 v[0:1], v0
	s_waitcnt lgkmcnt(0)
	s_andn2_b64 s[92:93], s[92:93], exec
	v_cmp_ge_u64_e32 vcc, v[0:1], v[28:29]
	s_orn2_b64 vcc, vcc, exec
	s_branch .LBB4_1172
.LBB4_1177:                             ;   in Loop: Header=BB4_1143 Depth=2
	s_or_b64 exec, exec, s[88:89]
	s_and_saveexec_b64 s[8:9], s[90:91]
	s_xor_b64 s[8:9], exec, s[8:9]
	s_cbranch_execz .LBB4_1179
; %bb.1178:                             ;   in Loop: Header=BB4_1143 Depth=2
	ds_write_b32 v0, v45
	s_trap 2
.LBB4_1179:                             ;   in Loop: Header=BB4_1143 Depth=2
	s_or_b64 exec, exec, s[78:79]
	;;#ASMSTART
	s_wakeup
	;;#ASMEND
.LBB4_1180:                             ;   in Loop: Header=BB4_1143 Depth=2
	s_or_b64 exec, exec, s[76:77]
.LBB4_1181:                             ;   in Loop: Header=BB4_1143 Depth=2
	s_andn2_saveexec_b64 s[42:43], s[42:43]
	s_cbranch_execz .LBB4_1183
; %bb.1182:                             ;   in Loop: Header=BB4_1143 Depth=2
	s_waitcnt vmcnt(0) lgkmcnt(0)
	buffer_wbinvl1_vol
	s_barrier
.LBB4_1183:                             ;   in Loop: Header=BB4_1143 Depth=2
	s_or_b64 exec, exec, s[42:43]
.LBB4_1184:                             ;   in Loop: Header=BB4_1143 Depth=2
	s_or_b64 exec, exec, s[26:27]
	v_sub_u32_e32 v0, v3, v53
	v_min_i32_e32 v52, v52, v0
	s_and_saveexec_b64 s[8:9], s[24:25]
	s_xor_b64 s[26:27], exec, s[8:9]
	s_cbranch_execz .LBB4_1188
; %bb.1185:                             ;   in Loop: Header=BB4_1143 Depth=2
	s_trap 2
	ds_read_b32 v0, v0
	v_cmp_lt_i32_e32 vcc, 0, v52
	v_and_b32_e32 v1, 16, v59
	s_waitcnt lgkmcnt(0)
	v_readfirstlane_b32 s8, v0
	s_cmp_eq_u32 s8, 0
	s_cselect_b64 s[8:9], -1, 0
	s_and_b64 s[8:9], vcc, s[8:9]
	v_cmp_ne_u32_e32 vcc, 0, v1
	s_and_b64 s[8:9], vcc, s[8:9]
	s_and_saveexec_b64 s[42:43], s[8:9]
	s_cbranch_execz .LBB4_1187
; %bb.1186:                             ;   in Loop: Header=BB4_1143 Depth=2
	s_waitcnt vmcnt(0)
	buffer_wbinvl1_vol
.LBB4_1187:                             ;   in Loop: Header=BB4_1143 Depth=2
	s_or_b64 exec, exec, s[42:43]
.LBB4_1188:                             ;   in Loop: Header=BB4_1143 Depth=2
	s_andn2_saveexec_b64 s[26:27], s[26:27]
	s_cbranch_execz .LBB4_1207
; %bb.1189:                             ;   in Loop: Header=BB4_1143 Depth=2
	s_and_saveexec_b64 s[8:9], s[56:57]
	s_xor_b64 s[42:43], exec, s[8:9]
	s_cbranch_execz .LBB4_1204
; %bb.1190:                             ;   in Loop: Header=BB4_1143 Depth=2
	s_and_saveexec_b64 s[76:77], s[16:17]
	s_cbranch_execz .LBB4_1203
; %bb.1191:                             ;   in Loop: Header=BB4_1143 Depth=2
	s_mov_b64 s[88:89], exec
	v_mbcnt_lo_u32_b32 v0, s88, 0
	v_mbcnt_hi_u32_b32 v0, s89, v0
	v_cmp_eq_u32_e32 vcc, 0, v0
	;;#ASMSTART
	s_waitcnt lgkmcnt(0) vmcnt(0)
	;;#ASMEND
	s_and_saveexec_b64 s[78:79], vcc
	s_cbranch_execz .LBB4_1193
; %bb.1192:                             ;   in Loop: Header=BB4_1143 Depth=2
	s_bcnt1_i32_b64 s8, s[88:89]
	v_mov_b32_e32 v0, s8
	v_mov_b32_e32 v1, v34
	s_waitcnt lgkmcnt(0)
	ds_add_u64 v0, v[0:1]
	s_trap 2
.LBB4_1193:                             ;   in Loop: Header=BB4_1143 Depth=2
	s_or_b64 exec, exec, s[78:79]
	s_trap 2
	ds_read_b64 v[0:1], v0
	s_waitcnt lgkmcnt(0)
	v_add_co_u32_e32 v28, vcc, v28, v39
	v_addc_co_u32_e32 v29, vcc, 0, v29, vcc
	v_cmp_lt_u64_e32 vcc, v[0:1], v[28:29]
	s_and_saveexec_b64 s[78:79], vcc
	s_cbranch_execz .LBB4_1202
; %bb.1194:                             ;   in Loop: Header=BB4_1143 Depth=2
	s_mov_b32 s8, 0
	s_mov_b64 s[88:89], 0
                                        ; implicit-def: $sgpr90_sgpr91
                                        ; implicit-def: $sgpr92_sgpr93
	s_branch .LBB4_1196
.LBB4_1195:                             ;   in Loop: Header=BB4_1196 Depth=3
	s_or_b64 exec, exec, s[30:31]
	s_and_b64 s[94:95], exec, vcc
	s_or_b64 s[88:89], s[94:95], s[88:89]
	s_andn2_b64 s[90:91], s[90:91], exec
	s_and_b64 s[94:95], s[92:93], exec
	s_or_b64 s[90:91], s[90:91], s[94:95]
	s_andn2_b64 exec, exec, s[88:89]
	s_cbranch_execz .LBB4_1200
.LBB4_1196:                             ;   Parent Loop BB4_47 Depth=1
                                        ;     Parent Loop BB4_1143 Depth=2
                                        ; =>    This Inner Loop Header: Depth=3
	s_add_i32 s8, s8, 1
	s_cmpk_lg_i32 s8, 0x2710
	s_cselect_b64 s[94:95], -1, 0
	s_and_b64 vcc, exec, s[94:95]
	s_cbranch_vccz .LBB4_1198
; %bb.1197:                             ;   in Loop: Header=BB4_1196 Depth=3
	s_mov_b64 vcc, -1
	s_or_b64 s[92:93], s[92:93], exec
	s_and_saveexec_b64 s[30:31], s[94:95]
	s_cbranch_execz .LBB4_1195
	s_branch .LBB4_1199
.LBB4_1198:                             ;   in Loop: Header=BB4_1196 Depth=3
	s_trap 2
	ds_read_b64 v[0:1], v0
	s_andn2_b64 s[94:95], s[94:95], exec
	s_mov_b32 s8, 0
	s_waitcnt vmcnt(0) lgkmcnt(0)
	flat_load_dword v0, v[0:1] glc
	s_waitcnt vmcnt(0) lgkmcnt(0)
	buffer_wbinvl1_vol
	v_cmp_eq_u32_e32 vcc, 0, v0
	s_and_b64 vcc, vcc, exec
	s_or_b64 s[94:95], s[94:95], vcc
	s_mov_b64 vcc, -1
	s_or_b64 s[92:93], s[92:93], exec
	s_and_saveexec_b64 s[30:31], s[94:95]
	s_cbranch_execz .LBB4_1195
.LBB4_1199:                             ;   in Loop: Header=BB4_1196 Depth=3
	s_sleep 1
	s_trap 2
	ds_read_b64 v[0:1], v0
	s_waitcnt lgkmcnt(0)
	s_andn2_b64 s[92:93], s[92:93], exec
	v_cmp_ge_u64_e32 vcc, v[0:1], v[28:29]
	s_orn2_b64 vcc, vcc, exec
	s_branch .LBB4_1195
.LBB4_1200:                             ;   in Loop: Header=BB4_1143 Depth=2
	s_or_b64 exec, exec, s[88:89]
	s_and_saveexec_b64 s[8:9], s[90:91]
	s_xor_b64 s[8:9], exec, s[8:9]
	s_cbranch_execz .LBB4_1202
; %bb.1201:                             ;   in Loop: Header=BB4_1143 Depth=2
	ds_write_b32 v0, v45
	s_trap 2
.LBB4_1202:                             ;   in Loop: Header=BB4_1143 Depth=2
	s_or_b64 exec, exec, s[78:79]
	;;#ASMSTART
	s_wakeup
	;;#ASMEND
.LBB4_1203:                             ;   in Loop: Header=BB4_1143 Depth=2
	s_or_b64 exec, exec, s[76:77]
.LBB4_1204:                             ;   in Loop: Header=BB4_1143 Depth=2
	s_andn2_saveexec_b64 s[42:43], s[42:43]
	s_cbranch_execz .LBB4_1206
; %bb.1205:                             ;   in Loop: Header=BB4_1143 Depth=2
	;;#ASMSTART
	s_waitcnt lgkmcnt(0) vmcnt(0)
	;;#ASMEND
	s_waitcnt vmcnt(0) lgkmcnt(0)
	s_barrier
.LBB4_1206:                             ;   in Loop: Header=BB4_1143 Depth=2
	s_or_b64 exec, exec, s[42:43]
.LBB4_1207:                             ;   in Loop: Header=BB4_1143 Depth=2
	s_or_b64 exec, exec, s[26:27]
	v_and_b32_e32 v0, 32, v59
	v_cmp_ne_u32_e32 vcc, 0, v0
	s_and_saveexec_b64 s[26:27], vcc
	s_cbranch_execz .LBB4_1142
; %bb.1208:                             ;   in Loop: Header=BB4_1143 Depth=2
	v_add_co_u32_e32 v20, vcc, 2, v20
	v_addc_co_u32_e32 v21, vcc, 0, v21, vcc
	flat_store_dwordx2 v[22:23], v[20:21]
	s_branch .LBB4_1142
.LBB4_1209:
	s_or_b64 exec, exec, s[58:59]
	v_readlane_b32 s28, v62, 4
	v_readlane_b32 s29, v62, 5
.LBB4_1210:
	v_readlane_b32 s4, v62, 2
	v_readlane_b32 s5, v62, 3
	s_or_b64 exec, exec, s[4:5]
	v_and_b32_e32 v0, 0x800, v59
	v_cmp_eq_u32_e32 vcc, 0, v0
	s_and_saveexec_b64 s[6:7], vcc
	s_cbranch_execz .LBB4_1243
; %bb.1211:
	v_and_b32_e32 v0, 48, v59
	v_cmp_ne_u32_e32 vcc, 0, v0
	s_and_saveexec_b64 s[4:5], vcc
	s_cbranch_execz .LBB4_1213
; %bb.1212:
	buffer_load_dword v0, off, s[0:3], s33 offset:280 ; 4-byte Folded Reload
	buffer_load_dword v1, off, s[0:3], s33 offset:284 ; 4-byte Folded Reload
	s_waitcnt vmcnt(0)
	flat_store_dwordx2 v[0:1], v[20:21] offset:104
.LBB4_1213:
	s_or_b64 exec, exec, s[4:5]
	s_movk_i32 s4, 0x88
	v_and_b32_e32 v0, 0x88, v59
	v_cmp_eq_u32_e32 vcc, s4, v0
	s_and_saveexec_b64 s[10:11], vcc
	s_cbranch_execz .LBB4_1223
; %bb.1214:
	v_add_u32_e32 v0, 6, v20
	v_and_b32_e32 v0, 7, v0
	v_mad_u64_u32 v[2:3], s[4:5], v0, 24, v[16:17]
	v_and_b32_e32 v4, 64, v59
	v_cmp_eq_u32_e64 s[4:5], 0, v4
	flat_load_dwordx2 v[0:1], v[2:3] offset:8 glc
	s_waitcnt vmcnt(0)
	s_mov_b32 s8, 0
	s_waitcnt lgkmcnt(0)
	v_cmp_ne_u64_e32 vcc, -1, v[0:1]
	s_and_b64 s[4:5], vcc, s[4:5]
	s_and_b64 exec, exec, s[4:5]
	s_cbranch_execz .LBB4_1223
; %bb.1215:
	s_mov_b64 s[4:5], 0
                                        ; implicit-def: $sgpr12_sgpr13
                                        ; implicit-def: $sgpr14_sgpr15
	s_branch .LBB4_1218
.LBB4_1216:                             ;   in Loop: Header=BB4_1218 Depth=1
	flat_load_dwordx2 v[4:5], v[2:3] offset:8 glc
	s_waitcnt vmcnt(0)
	s_andn2_b64 s[14:15], s[14:15], exec
	s_waitcnt lgkmcnt(0)
	v_cmp_eq_u64_e32 vcc, -1, v[4:5]
	s_orn2_b64 s[18:19], vcc, exec
.LBB4_1217:                             ;   in Loop: Header=BB4_1218 Depth=1
	s_or_b64 exec, exec, s[20:21]
	s_and_b64 s[16:17], exec, s[18:19]
	s_or_b64 s[4:5], s[16:17], s[4:5]
	s_andn2_b64 s[12:13], s[12:13], exec
	s_and_b64 s[16:17], s[14:15], exec
	s_or_b64 s[12:13], s[12:13], s[16:17]
	s_andn2_b64 exec, exec, s[4:5]
	s_cbranch_execz .LBB4_1221
.LBB4_1218:                             ; =>This Inner Loop Header: Depth=1
	s_cmpk_lt_i32 s8, 0x270f
	s_cselect_b64 s[16:17], -1, 0
	s_and_b64 vcc, exec, s[16:17]
	s_cbranch_vccnz .LBB4_1220
; %bb.1219:                             ;   in Loop: Header=BB4_1218 Depth=1
	s_trap 2
	ds_read_b64 v[0:1], v0
	s_andn2_b64 s[16:17], s[16:17], exec
	s_mov_b32 s8, 0
	s_waitcnt lgkmcnt(0)
	flat_load_dword v0, v[0:1] glc
	s_waitcnt vmcnt(0) lgkmcnt(0)
	buffer_wbinvl1_vol
	v_cmp_eq_u32_e32 vcc, 0, v0
	s_and_b64 s[18:19], vcc, exec
	s_or_b64 s[16:17], s[16:17], s[18:19]
	s_mov_b64 s[18:19], -1
	s_or_b64 s[14:15], s[14:15], exec
	s_and_saveexec_b64 s[20:21], s[16:17]
	s_cbranch_execz .LBB4_1217
	s_branch .LBB4_1216
.LBB4_1220:                             ;   in Loop: Header=BB4_1218 Depth=1
	s_add_i32 s8, s8, 1
                                        ; implicit-def: $vgpr0
	s_mov_b64 s[18:19], -1
	s_or_b64 s[14:15], s[14:15], exec
	s_and_saveexec_b64 s[20:21], s[16:17]
	s_cbranch_execz .LBB4_1217
	s_branch .LBB4_1216
.LBB4_1221:
	s_or_b64 exec, exec, s[4:5]
	s_and_saveexec_b64 s[4:5], s[12:13]
	s_xor_b64 s[4:5], exec, s[4:5]
	s_cbranch_execz .LBB4_1223
; %bb.1222:
	ds_write_b32 v0, v0
	s_trap 2
.LBB4_1223:
	s_or_b64 exec, exec, s[10:11]
	v_and_b32_e32 v0, 0x2000, v59
	v_cmp_ne_u32_e32 vcc, 0, v0
	s_and_saveexec_b64 s[4:5], vcc
	s_cbranch_execz .LBB4_1225
; %bb.1224:
	s_trap 2
	ds_read_b64 v[0:1], v0
	buffer_load_dword v2, off, s[0:3], s33 offset:296 ; 4-byte Folded Reload
	buffer_load_dword v3, off, s[0:3], s33 offset:300 ; 4-byte Folded Reload
	s_waitcnt vmcnt(0) lgkmcnt(0)
	flat_store_dwordx2 v[2:3], v[0:1] offset:16
.LBB4_1225:
	s_or_b64 exec, exec, s[4:5]
	buffer_load_dword v0, off, s[0:3], s33 offset:276 ; 4-byte Folded Reload
	s_waitcnt vmcnt(0)
	v_cmp_ne_u32_e32 vcc, 64, v0
	s_and_b64 exec, exec, vcc
	s_cbranch_execz .LBB4_1243
; %bb.1226:
	buffer_load_dword v0, off, s[0:3], s33 offset:276 ; 4-byte Folded Reload
	buffer_load_dword v1, off, s[0:3], s33 offset:292 ; 4-byte Folded Reload
	s_waitcnt vmcnt(0)
	v_cmp_ne_u32_sdwa s[4:5], v0, v1 src0_sel:DWORD src1_sel:WORD_0
	s_and_saveexec_b64 s[8:9], s[4:5]
	s_xor_b64 s[4:5], exec, s[8:9]
	s_cbranch_execz .LBB4_1241
; %bb.1227:
	buffer_load_dword v0, off, s[0:3], s33 offset:288 ; 4-byte Folded Reload
	s_waitcnt vmcnt(0)
	v_and_b32_e32 v0, 63, v0
	v_cmp_eq_u32_e32 vcc, 0, v0
	s_and_saveexec_b64 s[10:11], vcc
	s_cbranch_execz .LBB4_1240
; %bb.1228:
	s_mov_b64 s[14:15], exec
	v_mbcnt_lo_u32_b32 v0, s14, 0
	v_mbcnt_hi_u32_b32 v0, s15, v0
	v_cmp_eq_u32_e32 vcc, 0, v0
	s_waitcnt lgkmcnt(0)
	buffer_wbinvl1_vol
	s_and_saveexec_b64 s[12:13], vcc
	s_cbranch_execz .LBB4_1230
; %bb.1229:
	s_bcnt1_i32_b64 s8, s[14:15]
	v_mov_b32_e32 v0, s8
	v_mov_b32_e32 v1, 0
	ds_add_u64 v0, v[0:1]
	s_trap 2
.LBB4_1230:
	s_or_b64 exec, exec, s[12:13]
	buffer_load_dword v0, off, s[0:3], s33 offset:276 ; 4-byte Folded Reload
	s_trap 2
	s_waitcnt vmcnt(0)
	v_lshrrev_b32_e32 v0, 6, v0
	ds_read_b64 v[2:3], v0
	s_waitcnt lgkmcnt(0)
	v_add_co_u32_e32 v0, vcc, v28, v0
	v_addc_co_u32_e32 v1, vcc, 0, v29, vcc
	v_cmp_lt_u64_e32 vcc, v[2:3], v[0:1]
	s_and_saveexec_b64 s[12:13], vcc
	s_cbranch_execz .LBB4_1239
; %bb.1231:
	s_mov_b32 s8, 0
	s_mov_b64 s[14:15], 0
                                        ; implicit-def: $sgpr16_sgpr17
                                        ; implicit-def: $sgpr18_sgpr19
	s_branch .LBB4_1233
.LBB4_1232:                             ;   in Loop: Header=BB4_1233 Depth=1
	s_or_b64 exec, exec, s[22:23]
	s_and_b64 s[20:21], exec, s[24:25]
	s_or_b64 s[14:15], s[20:21], s[14:15]
	s_andn2_b64 s[16:17], s[16:17], exec
	s_and_b64 s[20:21], s[18:19], exec
	s_or_b64 s[16:17], s[16:17], s[20:21]
	s_andn2_b64 exec, exec, s[14:15]
	s_cbranch_execz .LBB4_1237
.LBB4_1233:                             ; =>This Inner Loop Header: Depth=1
	s_add_i32 s8, s8, 1
	s_cmpk_lg_i32 s8, 0x2710
	s_cselect_b64 s[20:21], -1, 0
	s_and_b64 vcc, exec, s[20:21]
	s_cbranch_vccz .LBB4_1235
; %bb.1234:                             ;   in Loop: Header=BB4_1233 Depth=1
	s_mov_b64 s[24:25], -1
	s_or_b64 s[18:19], s[18:19], exec
	s_and_saveexec_b64 s[22:23], s[20:21]
	s_cbranch_execz .LBB4_1232
	s_branch .LBB4_1236
.LBB4_1235:                             ;   in Loop: Header=BB4_1233 Depth=1
	s_trap 2
	ds_read_b64 v[2:3], v0
	s_andn2_b64 s[20:21], s[20:21], exec
	s_mov_b32 s8, 0
	s_waitcnt lgkmcnt(0)
	flat_load_dword v2, v[2:3] glc
	s_waitcnt vmcnt(0) lgkmcnt(0)
	buffer_wbinvl1_vol
	v_cmp_eq_u32_e32 vcc, 0, v2
	s_and_b64 s[22:23], vcc, exec
	s_or_b64 s[20:21], s[20:21], s[22:23]
	s_mov_b64 s[24:25], -1
	s_or_b64 s[18:19], s[18:19], exec
	s_and_saveexec_b64 s[22:23], s[20:21]
	s_cbranch_execz .LBB4_1232
.LBB4_1236:                             ;   in Loop: Header=BB4_1233 Depth=1
	s_sleep 1
	s_trap 2
	ds_read_b64 v[2:3], v0
	s_waitcnt lgkmcnt(0)
	s_andn2_b64 s[18:19], s[18:19], exec
	v_cmp_ge_u64_e32 vcc, v[2:3], v[0:1]
	s_orn2_b64 s[24:25], vcc, exec
	s_branch .LBB4_1232
.LBB4_1237:
	s_or_b64 exec, exec, s[14:15]
	s_and_saveexec_b64 s[8:9], s[16:17]
	s_xor_b64 s[8:9], exec, s[8:9]
	s_cbranch_execz .LBB4_1239
; %bb.1238:
	v_mov_b32_e32 v0, 1
	ds_write_b32 v0, v0
	s_trap 2
.LBB4_1239:
	s_or_b64 exec, exec, s[12:13]
	;;#ASMSTART
	s_wakeup
	;;#ASMEND
.LBB4_1240:
	s_or_b64 exec, exec, s[10:11]
.LBB4_1241:
	s_andn2_saveexec_b64 s[4:5], s[4:5]
	s_cbranch_execz .LBB4_1243
; %bb.1242:
	s_waitcnt lgkmcnt(0)
	buffer_wbinvl1_vol
	s_barrier
.LBB4_1243:
	s_or_b64 exec, exec, s[6:7]
.LBB4_1244:
	v_readlane_b32 s4, v62, 0
	v_readlane_b32 s5, v62, 1
	s_andn2_saveexec_b64 s[26:27], s[4:5]
	s_cbranch_execz .LBB4_1246
; %bb.1245:
	s_getpc_b64 s[4:5]
	s_add_u32 s4, s4, __PRETTY_FUNCTION__._ZN10PrimitivesIh14FuncSumPostDivIhE12FanSymmetricILi1EELi0E11ProtoSimpleILi2ELi2ELi0ELi2ELi0ELi0EELi0ELb0ELi0ELi0ELi0EEC2EiiPKiS8_PKvPvmhhhP15ncclDevWorkCollP14ncclDevWorkP2pii@rel32@lo+4
	s_addc_u32 s5, s5, __PRETTY_FUNCTION__._ZN10PrimitivesIh14FuncSumPostDivIhE12FanSymmetricILi1EELi0E11ProtoSimpleILi2ELi2ELi0ELi2ELi0ELi0EELi0ELb0ELi0ELi0ELi0EEC2EiiPKiS8_PKvPvmhhhP15ncclDevWorkCollP14ncclDevWorkP2pii@rel32@hi+12
	s_getpc_b64 s[6:7]
	s_add_u32 s6, s6, __assert_fail@rel32@lo+4
	s_addc_u32 s7, s7, __assert_fail@rel32@hi+12
	s_mov_b64 s[8:9], s[28:29]
	v_mov_b32_e32 v0, s4
	v_mov_b32_e32 v1, s5
	s_swappc_b64 s[30:31], s[6:7]
	; divergent unreachable
.LBB4_1246:
	s_or_b64 exec, exec, s[26:27]
	s_waitcnt lgkmcnt(0)
	buffer_load_dword v61, off, s[0:3], s33 ; 4-byte Folded Reload
	buffer_load_dword v60, off, s[0:3], s33 offset:4 ; 4-byte Folded Reload
	buffer_load_dword v59, off, s[0:3], s33 offset:8 ; 4-byte Folded Reload
	;; [unrolled: 1-line block ×13, first 2 shown]
	v_readlane_b32 s30, v63, 34
	v_readlane_b32 s31, v63, 35
	;; [unrolled: 1-line block ×36, first 2 shown]
	s_mov_b32 s32, s33
	v_readlane_b32 s4, v63, 36
	s_or_saveexec_b64 s[6:7], -1
	buffer_load_dword v63, off, s[0:3], s33 offset:304 ; 4-byte Folded Reload
	buffer_load_dword v62, off, s[0:3], s33 offset:308 ; 4-byte Folded Reload
	s_mov_b64 exec, s[6:7]
	s_mov_b32 s33, s4
	s_waitcnt vmcnt(0)
	s_setpc_b64 s[30:31]
.Lfunc_end4:
	.size	_ZN12_GLOBAL__N_17runRingIh14FuncSumPostDivIhE11ProtoSimpleILi2ELi2ELi0ELi2ELi0ELi0EELi0ELi0ELi2ELi0EEEviiP15ncclDevWorkColl, .Lfunc_end4-_ZN12_GLOBAL__N_17runRingIh14FuncSumPostDivIhE11ProtoSimpleILi2ELi2ELi0ELi2ELi0ELi0EELi0ELi0ELi2ELi0EEEviiP15ncclDevWorkColl
                                        ; -- End function
	.set .L_ZN12_GLOBAL__N_17runRingIh14FuncSumPostDivIhE11ProtoSimpleILi2ELi2ELi0ELi2ELi0ELi0EELi0ELi0ELi2ELi0EEEviiP15ncclDevWorkColl.num_vgpr, max(64, .L__assert_fail.num_vgpr)
	.set .L_ZN12_GLOBAL__N_17runRingIh14FuncSumPostDivIhE11ProtoSimpleILi2ELi2ELi0ELi2ELi0ELi0EELi0ELi0ELi2ELi0EEEviiP15ncclDevWorkColl.num_agpr, max(0, .L__assert_fail.num_agpr)
	.set .L_ZN12_GLOBAL__N_17runRingIh14FuncSumPostDivIhE11ProtoSimpleILi2ELi2ELi0ELi2ELi0ELi0EELi0ELi0ELi2ELi0EEEviiP15ncclDevWorkColl.numbered_sgpr, max(100, .L__assert_fail.numbered_sgpr)
	.set .L_ZN12_GLOBAL__N_17runRingIh14FuncSumPostDivIhE11ProtoSimpleILi2ELi2ELi0ELi2ELi0ELi0EELi0ELi0ELi2ELi0EEEviiP15ncclDevWorkColl.num_named_barrier, max(0, .L__assert_fail.num_named_barrier)
	.set .L_ZN12_GLOBAL__N_17runRingIh14FuncSumPostDivIhE11ProtoSimpleILi2ELi2ELi0ELi2ELi0ELi0EELi0ELi0ELi2ELi0EEEviiP15ncclDevWorkColl.private_seg_size, 320+max(.L__assert_fail.private_seg_size)
	.set .L_ZN12_GLOBAL__N_17runRingIh14FuncSumPostDivIhE11ProtoSimpleILi2ELi2ELi0ELi2ELi0ELi0EELi0ELi0ELi2ELi0EEEviiP15ncclDevWorkColl.uses_vcc, or(1, .L__assert_fail.uses_vcc)
	.set .L_ZN12_GLOBAL__N_17runRingIh14FuncSumPostDivIhE11ProtoSimpleILi2ELi2ELi0ELi2ELi0ELi0EELi0ELi0ELi2ELi0EEEviiP15ncclDevWorkColl.uses_flat_scratch, or(0, .L__assert_fail.uses_flat_scratch)
	.set .L_ZN12_GLOBAL__N_17runRingIh14FuncSumPostDivIhE11ProtoSimpleILi2ELi2ELi0ELi2ELi0ELi0EELi0ELi0ELi2ELi0EEEviiP15ncclDevWorkColl.has_dyn_sized_stack, or(0, .L__assert_fail.has_dyn_sized_stack)
	.set .L_ZN12_GLOBAL__N_17runRingIh14FuncSumPostDivIhE11ProtoSimpleILi2ELi2ELi0ELi2ELi0ELi0EELi0ELi0ELi2ELi0EEEviiP15ncclDevWorkColl.has_recursion, or(1, .L__assert_fail.has_recursion)
	.set .L_ZN12_GLOBAL__N_17runRingIh14FuncSumPostDivIhE11ProtoSimpleILi2ELi2ELi0ELi2ELi0ELi0EELi0ELi0ELi2ELi0EEEviiP15ncclDevWorkColl.has_indirect_call, or(0, .L__assert_fail.has_indirect_call)
	.section	.AMDGPU.csdata,"",@progbits
; Function info:
; codeLenInByte = 55696
; TotalNumSgprs: 104
; NumVgprs: 64
; ScratchSize: 384
; MemoryBound: 1
	.text
	.p2align	2                               ; -- Begin function _Z53ncclDevFunc_AllReduce_RING_SIMPLE_SumPostDiv_u8_0_0_2v
	.type	_Z53ncclDevFunc_AllReduce_RING_SIMPLE_SumPostDiv_u8_0_0_2v,@function
_Z53ncclDevFunc_AllReduce_RING_SIMPLE_SumPostDiv_u8_0_0_2v: ; @_Z53ncclDevFunc_AllReduce_RING_SIMPLE_SumPostDiv_u8_0_0_2v
; %bb.0:
	s_waitcnt vmcnt(0) expcnt(0) lgkmcnt(0)
	s_mov_b32 s4, s33
	s_mov_b32 s33, s32
	s_or_saveexec_b64 s[6:7], -1
	buffer_store_dword v43, off, s[0:3], s33 offset:20 ; 4-byte Folded Spill
	buffer_store_dword v44, off, s[0:3], s33 offset:24 ; 4-byte Folded Spill
	s_mov_b64 exec, s[6:7]
	v_writelane_b32 v44, s4, 38
	v_writelane_b32 v44, s100, 36
	;; [unrolled: 1-line block ×3, first 2 shown]
	s_addk_i32 s32, 0x800
	buffer_store_dword v40, off, s[0:3], s33 offset:12 ; 4-byte Folded Spill
	buffer_store_dword v41, off, s[0:3], s33 offset:8 ; 4-byte Folded Spill
	;; [unrolled: 1-line block ×3, first 2 shown]
	buffer_store_dword v62, off, s[0:3], s33 ; 4-byte Folded Spill
	v_writelane_b32 v44, s34, 0
	v_writelane_b32 v44, s35, 1
	;; [unrolled: 1-line block ×36, first 2 shown]
	s_trap 2
	ds_read_b32 v0, v0
	v_mov_b32_e32 v40, v31
                                        ; implicit-def: $vgpr43 : SGPR spill to VGPR lane
	v_and_b32_e32 v41, 0x3ff, v40
	v_writelane_b32 v43, s12, 0
	v_writelane_b32 v43, s8, 1
	s_waitcnt lgkmcnt(0)
	v_cmp_lt_i32_e32 vcc, v41, v0
	v_writelane_b32 v43, s9, 2
	s_and_saveexec_b64 s[4:5], vcc
	s_cbranch_execz .LBB5_5
; %bb.1:
	v_readlane_b32 s8, v43, 1
	v_readlane_b32 s9, v43, 2
	s_load_dword s6, s[8:9], 0x0
	v_readlane_b32 s7, v43, 0
	v_mov_b32_e32 v1, 0
	v_mov_b32_e32 v4, v41
                                        ; implicit-def: $vgpr3
	s_waitcnt lgkmcnt(0)
	s_cmp_lt_u32 s7, s6
	s_cselect_b32 s6, 12, 18
	s_add_u32 s6, s8, s6
	s_addc_u32 s7, s9, 0
	global_load_ushort v1, v1, s[6:7]
	s_trap 2
	ds_read_b32 v2, v0
	s_mov_b64 s[6:7], 0
	s_waitcnt vmcnt(0) lgkmcnt(0)
	v_mul_lo_u32 v2, v2, v1
	s_branch .LBB5_3
.LBB5_2:                                ;   in Loop: Header=BB5_3 Depth=1
	s_or_b64 exec, exec, s[8:9]
	v_add_u32_e32 v4, v4, v1
	v_cmp_ge_i32_e32 vcc, v4, v0
	s_or_b64 s[6:7], vcc, s[6:7]
	v_add_u32_e32 v3, v3, v2
	s_andn2_b64 exec, exec, s[6:7]
	s_cbranch_execz .LBB5_5
.LBB5_3:                                ; =>This Inner Loop Header: Depth=1
	ds_read_b32 v5, v3
	s_waitcnt lgkmcnt(0)
	v_and_b32_e32 v5, 0x1000000, v5
	v_cmp_ne_u32_e32 vcc, 0, v5
	s_and_saveexec_b64 s[8:9], vcc
	s_cbranch_execz .LBB5_2
; %bb.4:                                ;   in Loop: Header=BB5_3 Depth=1
	ds_read_b64 v[5:6], v3 offset:104
	s_waitcnt lgkmcnt(0)
	flat_load_dwordx2 v[5:6], v[5:6]
	s_waitcnt vmcnt(0) lgkmcnt(0)
	ds_write_b64 v3, v[5:6] offset:104
	s_branch .LBB5_2
.LBB5_5:
	s_or_b64 exec, exec, s[4:5]
	s_waitcnt vmcnt(0) lgkmcnt(0)
	s_barrier
	s_trap 2
	ds_read_b32 v0, v0
	s_waitcnt lgkmcnt(0)
	v_cmp_gt_i32_e32 vcc, 1, v0
	s_cbranch_vccnz .LBB5_13
; %bb.6:
	s_mov_b32 s6, 0
	v_mov_b32_e32 v42, 6
	s_branch .LBB5_8
.LBB5_7:                                ;   in Loop: Header=BB5_8 Depth=1
	s_or_b64 exec, exec, s[8:9]
	s_trap 2
	ds_read_b32 v0, v0
	s_add_i32 s6, s6, 1
	s_waitcnt lgkmcnt(0)
	v_cmp_lt_i32_e32 vcc, s6, v0
	s_cbranch_vccz .LBB5_13
.LBB5_8:                                ; =>This Inner Loop Header: Depth=1
	s_trap 2
	ds_read_b32 v0, v0
	s_cmp_eq_u32 s6, 0
	s_cbranch_scc1 .LBB5_11
; %bb.9:                                ;   in Loop: Header=BB5_8 Depth=1
	s_trap 2
	s_waitcnt lgkmcnt(0)
	ds_read_b32 v1, v0
	s_waitcnt lgkmcnt(0)
	v_xor_b32_e32 v1, v1, v0
	v_and_b32_e32 v1, 0xff0000, v1
	v_cmp_eq_u32_e32 vcc, 0, v1
	s_cbranch_vccnz .LBB5_11
; %bb.10:                               ;   in Loop: Header=BB5_8 Depth=1
	s_barrier
	ds_read_b32 v0, v0
.LBB5_11:                               ;   in Loop: Header=BB5_8 Depth=1
	s_waitcnt lgkmcnt(0)
	v_lshlrev_b32_sdwa v1, v42, v0 dst_sel:DWORD dst_unused:UNUSED_PAD src0_sel:DWORD src1_sel:BYTE_2
	v_cmp_lt_u32_e32 vcc, v41, v1
	s_and_saveexec_b64 s[8:9], vcc
	s_cbranch_execz .LBB5_7
; %bb.12:                               ;   in Loop: Header=BB5_8 Depth=1
	v_writelane_b32 v43, s6, 3
	v_writelane_b32 v43, s8, 4
	s_mov_b64 s[4:5], src_shared_base
	s_getpc_b64 s[6:7]
	s_add_u32 s6, s6, _ZN12_GLOBAL__N_17runRingIh14FuncSumPostDivIhE11ProtoSimpleILi2ELi2ELi0ELi2ELi0ELi0EELi0ELi0ELi2ELi0EEEviiP15ncclDevWorkColl@rel32@lo+4
	s_addc_u32 s7, s7, _ZN12_GLOBAL__N_17runRingIh14FuncSumPostDivIhE11ProtoSimpleILi2ELi2ELi0ELi2ELi0ELi0EELi0ELi0ELi2ELi0EEEviiP15ncclDevWorkColl@rel32@hi+12
	v_writelane_b32 v43, s9, 5
	s_or_saveexec_b64 s[100:101], -1
	buffer_store_dword v43, off, s[0:3], s33 offset:16 ; 4-byte Folded Spill
	s_mov_b64 exec, s[100:101]
	v_readlane_b32 s8, v43, 1
	v_readlane_b32 s9, v43, 2
	;; [unrolled: 1-line block ×3, first 2 shown]
	v_mov_b32_e32 v31, v40
	v_mov_b32_e32 v0, v41
	;; [unrolled: 1-line block ×3, first 2 shown]
	s_swappc_b64 s[30:31], s[6:7]
	s_or_saveexec_b64 s[100:101], -1
	buffer_load_dword v43, off, s[0:3], s33 offset:16 ; 4-byte Folded Reload
	s_mov_b64 exec, s[100:101]
	s_waitcnt vmcnt(0)
	v_readlane_b32 s8, v43, 4
	v_readlane_b32 s9, v43, 5
	;; [unrolled: 1-line block ×3, first 2 shown]
	s_branch .LBB5_7
.LBB5_13:
	buffer_load_dword v62, off, s[0:3], s33 ; 4-byte Folded Reload
	buffer_load_dword v42, off, s[0:3], s33 offset:4 ; 4-byte Folded Reload
	buffer_load_dword v41, off, s[0:3], s33 offset:8 ; 4-byte Folded Reload
	;; [unrolled: 1-line block ×3, first 2 shown]
	v_readlane_b32 s30, v44, 34
	v_readlane_b32 s31, v44, 35
	;; [unrolled: 1-line block ×36, first 2 shown]
	s_mov_b32 s32, s33
	v_readlane_b32 s4, v44, 38
	v_readlane_b32 s100, v44, 36
	;; [unrolled: 1-line block ×3, first 2 shown]
	s_or_saveexec_b64 s[6:7], -1
	buffer_load_dword v43, off, s[0:3], s33 offset:20 ; 4-byte Folded Reload
	buffer_load_dword v44, off, s[0:3], s33 offset:24 ; 4-byte Folded Reload
	s_mov_b64 exec, s[6:7]
	s_mov_b32 s33, s4
	s_waitcnt vmcnt(0)
	s_setpc_b64 s[30:31]
.Lfunc_end5:
	.size	_Z53ncclDevFunc_AllReduce_RING_SIMPLE_SumPostDiv_u8_0_0_2v, .Lfunc_end5-_Z53ncclDevFunc_AllReduce_RING_SIMPLE_SumPostDiv_u8_0_0_2v
                                        ; -- End function
	.set .L_Z53ncclDevFunc_AllReduce_RING_SIMPLE_SumPostDiv_u8_0_0_2v.num_vgpr, max(63, .L_ZN12_GLOBAL__N_17runRingIh14FuncSumPostDivIhE11ProtoSimpleILi2ELi2ELi0ELi2ELi0ELi0EELi0ELi0ELi2ELi0EEEviiP15ncclDevWorkColl.num_vgpr)
	.set .L_Z53ncclDevFunc_AllReduce_RING_SIMPLE_SumPostDiv_u8_0_0_2v.num_agpr, max(0, .L_ZN12_GLOBAL__N_17runRingIh14FuncSumPostDivIhE11ProtoSimpleILi2ELi2ELi0ELi2ELi0ELi0EELi0ELi0ELi2ELi0EEEviiP15ncclDevWorkColl.num_agpr)
	.set .L_Z53ncclDevFunc_AllReduce_RING_SIMPLE_SumPostDiv_u8_0_0_2v.numbered_sgpr, max(102, .L_ZN12_GLOBAL__N_17runRingIh14FuncSumPostDivIhE11ProtoSimpleILi2ELi2ELi0ELi2ELi0ELi0EELi0ELi0ELi2ELi0EEEviiP15ncclDevWorkColl.numbered_sgpr)
	.set .L_Z53ncclDevFunc_AllReduce_RING_SIMPLE_SumPostDiv_u8_0_0_2v.num_named_barrier, max(0, .L_ZN12_GLOBAL__N_17runRingIh14FuncSumPostDivIhE11ProtoSimpleILi2ELi2ELi0ELi2ELi0ELi0EELi0ELi0ELi2ELi0EEEviiP15ncclDevWorkColl.num_named_barrier)
	.set .L_Z53ncclDevFunc_AllReduce_RING_SIMPLE_SumPostDiv_u8_0_0_2v.private_seg_size, 32+max(.L_ZN12_GLOBAL__N_17runRingIh14FuncSumPostDivIhE11ProtoSimpleILi2ELi2ELi0ELi2ELi0ELi0EELi0ELi0ELi2ELi0EEEviiP15ncclDevWorkColl.private_seg_size)
	.set .L_Z53ncclDevFunc_AllReduce_RING_SIMPLE_SumPostDiv_u8_0_0_2v.uses_vcc, or(1, .L_ZN12_GLOBAL__N_17runRingIh14FuncSumPostDivIhE11ProtoSimpleILi2ELi2ELi0ELi2ELi0ELi0EELi0ELi0ELi2ELi0EEEviiP15ncclDevWorkColl.uses_vcc)
	.set .L_Z53ncclDevFunc_AllReduce_RING_SIMPLE_SumPostDiv_u8_0_0_2v.uses_flat_scratch, or(0, .L_ZN12_GLOBAL__N_17runRingIh14FuncSumPostDivIhE11ProtoSimpleILi2ELi2ELi0ELi2ELi0ELi0EELi0ELi0ELi2ELi0EEEviiP15ncclDevWorkColl.uses_flat_scratch)
	.set .L_Z53ncclDevFunc_AllReduce_RING_SIMPLE_SumPostDiv_u8_0_0_2v.has_dyn_sized_stack, or(0, .L_ZN12_GLOBAL__N_17runRingIh14FuncSumPostDivIhE11ProtoSimpleILi2ELi2ELi0ELi2ELi0ELi0EELi0ELi0ELi2ELi0EEEviiP15ncclDevWorkColl.has_dyn_sized_stack)
	.set .L_Z53ncclDevFunc_AllReduce_RING_SIMPLE_SumPostDiv_u8_0_0_2v.has_recursion, or(1, .L_ZN12_GLOBAL__N_17runRingIh14FuncSumPostDivIhE11ProtoSimpleILi2ELi2ELi0ELi2ELi0ELi0EELi0ELi0ELi2ELi0EEEviiP15ncclDevWorkColl.has_recursion)
	.set .L_Z53ncclDevFunc_AllReduce_RING_SIMPLE_SumPostDiv_u8_0_0_2v.has_indirect_call, or(0, .L_ZN12_GLOBAL__N_17runRingIh14FuncSumPostDivIhE11ProtoSimpleILi2ELi2ELi0ELi2ELi0ELi0EELi0ELi0ELi2ELi0EEEviiP15ncclDevWorkColl.has_indirect_call)
	.section	.AMDGPU.csdata,"",@progbits
; Function info:
; codeLenInByte = 1356
; TotalNumSgprs: 106
; NumVgprs: 64
; ScratchSize: 416
; MemoryBound: 0
	.text
	.p2align	2                               ; -- Begin function _ZN12_GLOBAL__N_17runRingIh14FuncSumPostDivIhE11ProtoSimpleILi2ELi2ELi0ELi4ELi0ELi0EELi0ELi0ELi4ELi0EEEviiP15ncclDevWorkColl
	.type	_ZN12_GLOBAL__N_17runRingIh14FuncSumPostDivIhE11ProtoSimpleILi2ELi2ELi0ELi4ELi0ELi0EELi0ELi0ELi4ELi0EEEviiP15ncclDevWorkColl,@function
_ZN12_GLOBAL__N_17runRingIh14FuncSumPostDivIhE11ProtoSimpleILi2ELi2ELi0ELi4ELi0ELi0EELi0ELi0ELi4ELi0EEEviiP15ncclDevWorkColl: ; @_ZN12_GLOBAL__N_17runRingIh14FuncSumPostDivIhE11ProtoSimpleILi2ELi2ELi0ELi4ELi0ELi0EELi0ELi0ELi4ELi0EEEviiP15ncclDevWorkColl
; %bb.0:
	s_waitcnt vmcnt(0) expcnt(0) lgkmcnt(0)
	s_mov_b32 s4, s33
	s_mov_b32 s33, s32
	s_or_saveexec_b64 s[6:7], -1
	buffer_store_dword v63, off, s[0:3], s33 offset:444 ; 4-byte Folded Spill
	buffer_store_dword v62, off, s[0:3], s33 offset:448 ; 4-byte Folded Spill
	s_mov_b64 exec, s[6:7]
	v_writelane_b32 v63, s4, 36
	s_addk_i32 s32, 0x7400
	buffer_store_dword v40, off, s[0:3], s33 offset:52 ; 4-byte Folded Spill
	buffer_store_dword v41, off, s[0:3], s33 offset:48 ; 4-byte Folded Spill
	;; [unrolled: 1-line block ×13, first 2 shown]
	buffer_store_dword v61, off, s[0:3], s33 ; 4-byte Folded Spill
	v_writelane_b32 v63, s34, 0
	v_writelane_b32 v63, s35, 1
	;; [unrolled: 1-line block ×36, first 2 shown]
	buffer_store_dword v31, off, s[0:3], s33 offset:428 ; 4-byte Folded Spill
	buffer_store_dword v1, off, s[0:3], s33 offset:416 ; 4-byte Folded Spill
	;; [unrolled: 1-line block ×3, first 2 shown]
	s_trap 2
	flat_load_dword v1, v[2:3]
	ds_read_b32 v6, v0
	s_mov_b64 s[28:29], s[8:9]
                                        ; implicit-def: $vgpr7_vgpr8
                                        ; implicit-def: $vgpr4_vgpr5
                                        ; kill: killed $vgpr7_vgpr8
                                        ; implicit-def: $vgpr8_vgpr9
	s_waitcnt lgkmcnt(0)
	v_readfirstlane_b32 s50, v6
	s_waitcnt vmcnt(0)
	v_cmp_ne_u32_sdwa s[4:5], v6, v1 src0_sel:DWORD src1_sel:BYTE_0
	s_and_saveexec_b64 s[6:7], s[4:5]
	s_xor_b64 s[4:5], exec, s[6:7]
	s_cbranch_execz .LBB6_6
; %bb.1:
	v_not_b32_sdwa v0, v1 dst_sel:DWORD dst_unused:UNUSED_PAD src0_sel:BYTE_0
	v_cmp_ne_u32_sdwa s[6:7], v6, v1 src0_sel:DWORD src1_sel:BYTE_1
                                        ; implicit-def: $vgpr7_vgpr8
                                        ; implicit-def: $vgpr4_vgpr5
                                        ; kill: killed $vgpr7_vgpr8
                                        ; implicit-def: $vgpr8_vgpr9
	s_and_saveexec_b64 s[8:9], s[6:7]
	s_xor_b64 s[6:7], exec, s[8:9]
	s_cbranch_execz .LBB6_3
; %bb.2:
	flat_load_dwordx4 v[7:10], v[2:3] offset:72
	flat_load_dwordx2 v[4:5], v[2:3] offset:96
	v_add_u32_e32 v0, v6, v0
	v_ashrrev_i32_e32 v1, 31, v0
	s_waitcnt vmcnt(0) lgkmcnt(0)
	v_mul_lo_u32 v1, v9, v1
	v_mad_u64_u32 v[6:7], s[8:9], v9, v0, v[7:8]
	v_mul_lo_u32 v0, v10, v0
	v_mov_b32_e32 v8, v9
	v_lshrrev_b64 v[4:5], 12, v[4:5]
	v_mov_b32_e32 v9, v10
	v_add3_u32 v7, v0, v7, v1
	buffer_store_dword v6, off, s[0:3], s33 offset:408 ; 4-byte Folded Spill
	s_nop 0
	buffer_store_dword v7, off, s[0:3], s33 offset:412 ; 4-byte Folded Spill
                                        ; implicit-def: $vgpr1
                                        ; implicit-def: $vgpr0
.LBB6_3:
	s_andn2_saveexec_b64 s[6:7], s[6:7]
	s_cbranch_execz .LBB6_5
; %bb.4:
	flat_load_dwordx4 v[4:7], v[2:3] offset:72
	flat_load_dwordx4 v[8:11], v[2:3] offset:88
	v_add_u32_sdwa v0, v1, v0 dst_sel:DWORD dst_unused:UNUSED_PAD src0_sel:BYTE_1 src1_sel:DWORD
	v_ashrrev_i32_e32 v1, 31, v0
	s_waitcnt vmcnt(0) lgkmcnt(0)
	v_mul_lo_u32 v1, v6, v1
	v_mad_u64_u32 v[4:5], s[8:9], v6, v0, v[4:5]
	v_mul_lo_u32 v0, v7, v0
	v_add3_u32 v5, v0, v5, v1
	buffer_store_dword v4, off, s[0:3], s33 offset:408 ; 4-byte Folded Spill
	s_nop 0
	buffer_store_dword v5, off, s[0:3], s33 offset:412 ; 4-byte Folded Spill
	v_lshrrev_b32_e32 v4, 1, v11
.LBB6_5:
	s_or_b64 exec, exec, s[6:7]
.LBB6_6:
	s_andn2_saveexec_b64 s[4:5], s[4:5]
	s_cbranch_execz .LBB6_8
; %bb.7:
	flat_load_dwordx2 v[0:1], v[2:3] offset:96
	flat_load_dwordx2 v[8:9], v[2:3] offset:72
	s_waitcnt vmcnt(0) lgkmcnt(0)
	v_lshlrev_b64 v[4:5], 9, v[0:1]
	v_mov_b32_e32 v0, 0
	v_mov_b32_e32 v1, 0
	buffer_store_dword v0, off, s[0:3], s33 offset:408 ; 4-byte Folded Spill
	s_nop 0
	buffer_store_dword v1, off, s[0:3], s33 offset:412 ; 4-byte Folded Spill
.LBB6_8:
	s_or_b64 exec, exec, s[4:5]
	s_trap 2
	buffer_load_dword v6, off, s[0:3], s33 offset:416 ; 4-byte Folded Reload
	ds_read_b64 v[0:1], v0
	s_waitcnt lgkmcnt(0)
	v_cmp_ne_u32_e32 vcc, -1, v0
	v_cndmask_b32_e64 v0, 0, 1, vcc
	v_cmp_ne_u32_e32 vcc, -1, v1
	v_addc_co_u32_e64 v1, s[4:5], 0, v0, vcc
	v_lshlrev_b32_e32 v5, 1, v1
	s_waitcnt vmcnt(0)
	v_cmp_le_u32_e64 s[4:5], v5, v6
	s_and_saveexec_b64 s[6:7], s[4:5]
	s_xor_b64 s[6:7], exec, s[6:7]
                                        ; implicit-def: $vgpr62 : SGPR spill to VGPR lane
	v_writelane_b32 v62, s6, 0
	v_writelane_b32 v62, s7, 1
	s_cbranch_execz .LBB6_1244
; %bb.9:
	buffer_store_dword v8, off, s[0:3], s33 offset:392 ; 4-byte Folded Spill
	s_nop 0
	buffer_store_dword v9, off, s[0:3], s33 offset:396 ; 4-byte Folded Spill
	buffer_store_dword v10, off, s[0:3], s33 offset:400 ; 4-byte Folded Spill
	;; [unrolled: 1-line block ×3, first 2 shown]
	flat_load_dwordx4 v[10:13], v[2:3] offset:16
	s_nop 0
	flat_load_dwordx2 v[14:15], v[2:3] offset:104
	flat_load_ushort v7, v[2:3] offset:8
	flat_load_dword v6, v[2:3] offset:4
	s_trap 2
	s_load_dword s4, s[28:29], 0x0
	v_mov_b32_e32 v5, 0
	v_mov_b32_e32 v45, 4
	s_waitcnt lgkmcnt(0)
	s_cmp_lt_u32 s12, s4
	s_cselect_b32 s4, 12, 18
	s_add_u32 s4, s28, s4
	s_addc_u32 s5, s29, 0
	global_load_ushort v5, v5, s[4:5]
	s_waitcnt vmcnt(0)
	buffer_store_dword v5, off, s[0:3], s33 offset:432 ; 4-byte Folded Spill
	ds_read_b32 v5, v0
	s_waitcnt lgkmcnt(0)
	v_readfirstlane_b32 s8, v5
	buffer_load_dword v5, off, s[0:3], s33 offset:148 ; 4-byte Folded Reload
	s_waitcnt vmcnt(0)
	v_cmp_ge_u32_e64 s[4:5], v5, v0
	s_and_saveexec_b64 s[6:7], s[4:5]
	s_cbranch_execz .LBB6_19
; %bb.10:
	buffer_load_dword v5, off, s[0:3], s33 offset:148 ; 4-byte Folded Reload
                                        ; implicit-def: $vgpr45
	s_waitcnt vmcnt(0)
	v_cmp_ge_u32_e64 s[4:5], v5, v1
	s_and_saveexec_b64 s[10:11], s[4:5]
	s_xor_b64 s[4:5], exec, s[10:11]
	s_cbranch_execz .LBB6_16
; %bb.11:
	buffer_load_dword v8, off, s[0:3], s33 offset:416 ; 4-byte Folded Reload
	v_cndmask_b32_e64 v5, 0, 1, vcc
	s_waitcnt vmcnt(0)
	v_sub_u32_e32 v5, v8, v5
	buffer_load_dword v8, off, s[0:3], s33 offset:148 ; 4-byte Folded Reload
	s_waitcnt vmcnt(0)
	v_cmp_ge_u32_e32 vcc, v8, v5
	s_and_saveexec_b64 s[10:11], vcc
	s_xor_b64 s[10:11], exec, s[10:11]
; %bb.12:
                                        ; implicit-def: $vgpr1
; %bb.13:
	s_or_saveexec_b64 s[10:11], s[10:11]
	v_mov_b32_e32 v45, 16
	s_xor_b64 exec, exec, s[10:11]
	s_cbranch_execz .LBB6_15
; %bb.14:
	buffer_load_dword v5, off, s[0:3], s33 offset:416 ; 4-byte Folded Reload
	s_waitcnt vmcnt(0)
	v_sub_u32_e32 v1, v5, v1
	buffer_load_dword v5, off, s[0:3], s33 offset:148 ; 4-byte Folded Reload
	s_waitcnt vmcnt(0)
	v_cmp_lt_i32_e32 vcc, v5, v1
	v_cndmask_b32_e64 v45, 32, 0, vcc
.LBB6_15:
	s_or_b64 exec, exec, s[10:11]
.LBB6_16:
	s_andn2_saveexec_b64 s[4:5], s[4:5]
; %bb.17:
	v_mov_b32_e32 v45, 8
; %bb.18:
	s_or_b64 exec, exec, s[4:5]
.LBB6_19:
	s_or_b64 exec, exec, s[6:7]
	v_and_b32_e32 v1, 36, v45
	v_cmp_ne_u32_e32 vcc, 0, v1
	v_mov_b32_e32 v5, -1
	s_and_saveexec_b64 s[4:5], vcc
	s_cbranch_execz .LBB6_21
; %bb.20:
	s_trap 2
	ds_read_b32 v5, v0
.LBB6_21:
	s_or_b64 exec, exec, s[4:5]
	v_and_b32_e32 v1, 24, v45
	v_cmp_ne_u32_e64 s[4:5], 0, v1
	s_and_saveexec_b64 s[6:7], s[4:5]
	s_cbranch_execz .LBB6_23
; %bb.22:
	s_trap 2
	s_waitcnt lgkmcnt(0)
	ds_read_b32 v5, v0
.LBB6_23:
	s_or_b64 exec, exec, s[6:7]
	v_lshrrev_b64 v[6:7], 31, v[6:7]
	v_mov_b32_e32 v7, 0
	v_mov_b32_e32 v8, 0
	buffer_store_dword v7, off, s[0:3], s33 offset:420 ; 4-byte Folded Spill
	s_nop 0
	buffer_store_dword v8, off, s[0:3], s33 offset:424 ; 4-byte Folded Spill
	v_mov_b32_e32 v7, 0
	v_mov_b32_e32 v8, 0
	buffer_store_dword v7, off, s[0:3], s33 offset:120 ; 4-byte Folded Spill
	s_nop 0
	buffer_store_dword v8, off, s[0:3], s33 offset:124 ; 4-byte Folded Spill
	buffer_store_dword v9, off, s[0:3], s33 offset:128 ; 4-byte Folded Spill
	;; [unrolled: 1-line block ×3, first 2 shown]
	v_and_b32_e32 v1, 3, v6
                                        ; implicit-def: $vgpr6_vgpr7
                                        ; kill: killed $vgpr6_vgpr7
                                        ; implicit-def: $vgpr6
                                        ; kill: killed $vgpr6
                                        ; implicit-def: $vgpr17_vgpr18
                                        ; implicit-def: $vgpr48_vgpr49
                                        ; implicit-def: $vgpr37_vgpr38
                                        ; implicit-def: $vgpr42_vgpr43
	s_and_saveexec_b64 s[4:5], vcc
	s_cbranch_execz .LBB6_33
; %bb.24:
	s_trap 2
	ds_read_b64 v[7:8], v0
	s_waitcnt lgkmcnt(1)
	v_ashrrev_i32_e32 v6, 31, v5
	v_lshlrev_b64 v[16:17], 3, v[5:6]
	s_movk_i32 s6, 0xa8
	s_waitcnt lgkmcnt(0)
	v_add_co_u32_e32 v6, vcc, v7, v16
	v_addc_co_u32_e32 v7, vcc, v8, v17, vcc
	flat_load_dwordx2 v[6:7], v[6:7]
	v_and_b32_e32 v8, 0xffff, v1
	s_waitcnt vmcnt(0) lgkmcnt(0)
	v_mad_u64_u32 v[8:9], s[6:7], v8, s6, v[6:7]
	flat_load_dword v6, v[8:9] offset:640
	s_waitcnt vmcnt(0) lgkmcnt(0)
	v_cmp_eq_u32_e32 vcc, 1, v6
                                        ; implicit-def: $vgpr6_vgpr7
                                        ; kill: killed $vgpr6_vgpr7
	s_and_saveexec_b64 s[6:7], vcc
	s_cbranch_execz .LBB6_26
; %bb.25:
	flat_load_dwordx2 v[16:17], v[8:9] offset:648
	v_or_b32_e32 v45, 0x2000, v45
	s_waitcnt vmcnt(0) lgkmcnt(0)
	flat_load_dwordx2 v[6:7], v[16:17]
	s_trap 2
	s_waitcnt vmcnt(0) lgkmcnt(0)
	ds_write_b64 v0, v[6:7]
	flat_load_dwordx2 v[6:7], v[16:17] offset:8
	s_waitcnt vmcnt(0) lgkmcnt(0)
	ds_write_b64 v0, v[6:7]
	buffer_store_dword v16, off, s[0:3], s33 offset:436 ; 4-byte Folded Spill
	s_nop 0
	buffer_store_dword v17, off, s[0:3], s33 offset:440 ; 4-byte Folded Spill
	flat_load_dwordx2 v[6:7], v[16:17] offset:16
	s_waitcnt vmcnt(0) lgkmcnt(0)
	ds_write_b64 v0, v[6:7]
.LBB6_26:
	s_or_b64 exec, exec, s[6:7]
	flat_load_dwordx2 v[6:7], v[8:9] offset:608
	v_and_b32_e32 v16, 32, v45
                                        ; implicit-def: $vgpr42_vgpr43
	s_waitcnt vmcnt(0) lgkmcnt(0)
	v_add_co_u32_e32 v6, vcc, 3, v6
	v_addc_co_u32_e32 v18, vcc, 0, v7, vcc
	v_and_b32_e32 v17, -4, v6
	v_cmp_ne_u32_e32 vcc, 0, v16
	s_and_saveexec_b64 s[6:7], vcc
	s_cbranch_execz .LBB6_28
; %bb.27:
	flat_load_dwordx2 v[42:43], v[8:9] offset:560
	s_waitcnt vmcnt(0) lgkmcnt(0)
	flat_store_dwordx2 v[42:43], v[17:18]
.LBB6_28:
	s_or_b64 exec, exec, s[6:7]
	v_add_co_u32_e32 v6, vcc, 0x1f8, v8
	v_addc_co_u32_e32 v7, vcc, 0, v9, vcc
	buffer_store_dword v6, off, s[0:3], s33 offset:420 ; 4-byte Folded Spill
	s_nop 0
	buffer_store_dword v7, off, s[0:3], s33 offset:424 ; 4-byte Folded Spill
	v_and_b32_e32 v6, 4, v45
	v_mov_b32_e32 v19, 0
	v_mov_b32_e32 v20, 0
	v_cmp_ne_u32_e32 vcc, 0, v6
	buffer_store_dword v19, off, s[0:3], s33 offset:120 ; 4-byte Folded Spill
	s_nop 0
	buffer_store_dword v20, off, s[0:3], s33 offset:124 ; 4-byte Folded Spill
	buffer_store_dword v21, off, s[0:3], s33 offset:128 ; 4-byte Folded Spill
	;; [unrolled: 1-line block ×3, first 2 shown]
                                        ; implicit-def: $vgpr6
                                        ; kill: killed $vgpr6
                                        ; implicit-def: $vgpr48_vgpr49
                                        ; implicit-def: $vgpr37_vgpr38
	s_and_saveexec_b64 s[6:7], vcc
	s_cbranch_execz .LBB6_32
; %bb.29:
	v_and_b32_e32 v6, 0x800, v45
	v_cmp_eq_u32_e32 vcc, 0, v6
	s_and_saveexec_b64 s[10:11], vcc
	s_cbranch_execz .LBB6_31
; %bb.30:
	s_trap 2
	buffer_load_dword v6, off, s[0:3], s33 offset:420 ; 4-byte Folded Reload
	buffer_load_dword v7, off, s[0:3], s33 offset:424 ; 4-byte Folded Reload
	s_waitcnt vmcnt(0)
	ds_write_b64 v0, v[6:7]
.LBB6_31:
	s_or_b64 exec, exec, s[10:11]
	flat_load_dwordx2 v[42:43], v[8:9] offset:552
	s_waitcnt vmcnt(0) lgkmcnt(0)
	flat_load_dwordx2 v[37:38], v[42:43] glc
	flat_load_dwordx2 v[19:20], v[8:9] offset:600
	flat_load_dword v6, v[8:9] offset:576
	flat_load_dwordx2 v[48:49], v[8:9] offset:520
	s_waitcnt vmcnt(0) lgkmcnt(0)
	v_cmp_eq_u64_e32 vcc, 0, v[19:20]
	buffer_store_dword v6, off, s[0:3], s33 offset:144 ; 4-byte Folded Spill
	v_or_b32_e32 v6, 0x100, v45
	v_mov_b32_e32 v7, v19
	v_mov_b32_e32 v8, v20
	v_cndmask_b32_e32 v45, v6, v45, vcc
	buffer_store_dword v7, off, s[0:3], s33 offset:120 ; 4-byte Folded Spill
	s_nop 0
	buffer_store_dword v8, off, s[0:3], s33 offset:124 ; 4-byte Folded Spill
	buffer_store_dword v9, off, s[0:3], s33 offset:128 ; 4-byte Folded Spill
	;; [unrolled: 1-line block ×3, first 2 shown]
.LBB6_32:
	s_or_b64 exec, exec, s[6:7]
.LBB6_33:
	s_or_b64 exec, exec, s[4:5]
	v_and_b32_e32 v6, 24, v45
	v_cmp_ne_u32_e32 vcc, 0, v6
                                        ; implicit-def: $vgpr40_vgpr41
	s_and_saveexec_b64 s[4:5], vcc
	s_cbranch_execz .LBB6_41
; %bb.34:
	s_trap 2
	ds_read_b64 v[7:8], v0
	s_waitcnt lgkmcnt(0)
	v_ashrrev_i32_e32 v6, 31, v5
	v_lshlrev_b64 v[5:6], 3, v[5:6]
	v_and_b32_e32 v1, 0xffff, v1
	s_movk_i32 s6, 0xa8
	v_add_co_u32_e32 v5, vcc, v7, v5
	v_addc_co_u32_e32 v6, vcc, v8, v6, vcc
	flat_load_dwordx2 v[5:6], v[5:6]
                                        ; implicit-def: $vgpr40_vgpr41
	s_waitcnt vmcnt(0) lgkmcnt(0)
	v_mad_u64_u32 v[5:6], s[6:7], v1, s6, v[5:6]
	buffer_store_dword v5, off, s[0:3], s33 offset:420 ; 4-byte Folded Spill
	s_nop 0
	buffer_store_dword v6, off, s[0:3], s33 offset:424 ; 4-byte Folded Spill
	v_or_b32_e32 v1, 0x100, v45
	flat_load_dwordx4 v[5:8], v[5:6] offset:96
	s_waitcnt vmcnt(0) lgkmcnt(0)
	buffer_store_dword v5, off, s[0:3], s33 offset:120 ; 4-byte Folded Spill
	s_nop 0
	buffer_store_dword v6, off, s[0:3], s33 offset:124 ; 4-byte Folded Spill
	buffer_store_dword v7, off, s[0:3], s33 offset:128 ; 4-byte Folded Spill
	;; [unrolled: 1-line block ×3, first 2 shown]
	v_cmp_eq_u64_e32 vcc, 0, v[5:6]
	v_cndmask_b32_e32 v45, v1, v45, vcc
	v_and_b32_e32 v1, 16, v45
	v_cmp_ne_u32_e32 vcc, 0, v1
	s_and_saveexec_b64 s[6:7], vcc
	s_cbranch_execz .LBB6_36
; %bb.35:
	buffer_load_dword v5, off, s[0:3], s33 offset:420 ; 4-byte Folded Reload
	buffer_load_dword v6, off, s[0:3], s33 offset:424 ; 4-byte Folded Reload
	s_waitcnt vmcnt(0)
	flat_load_dwordx2 v[42:43], v[5:6] offset:48
	flat_load_dwordx2 v[40:41], v[5:6] offset:120
	;; [unrolled: 1-line block ×3, first 2 shown]
.LBB6_36:
	s_or_b64 exec, exec, s[6:7]
	buffer_load_dword v5, off, s[0:3], s33 offset:120 ; 4-byte Folded Reload
	buffer_load_dword v6, off, s[0:3], s33 offset:124 ; 4-byte Folded Reload
	;; [unrolled: 1-line block ×4, first 2 shown]
	s_waitcnt vmcnt(0)
	v_add_co_u32_e32 v1, vcc, 3, v7
	v_addc_co_u32_e32 v18, vcc, 0, v8, vcc
	v_and_b32_e32 v17, -4, v1
	v_and_b32_e32 v1, 8, v45
	v_cmp_ne_u32_e32 vcc, 0, v1
	s_and_saveexec_b64 s[6:7], vcc
	s_cbranch_execz .LBB6_40
; %bb.37:
	v_and_b32_e32 v1, 0x800, v45
	v_cmp_eq_u32_e32 vcc, 0, v1
	s_and_saveexec_b64 s[10:11], vcc
	s_cbranch_execz .LBB6_39
; %bb.38:
	s_trap 2
	buffer_load_dword v5, off, s[0:3], s33 offset:420 ; 4-byte Folded Reload
	buffer_load_dword v6, off, s[0:3], s33 offset:424 ; 4-byte Folded Reload
	s_waitcnt vmcnt(0)
	ds_write_b64 v0, v[5:6]
.LBB6_39:
	s_or_b64 exec, exec, s[10:11]
	buffer_load_dword v5, off, s[0:3], s33 offset:420 ; 4-byte Folded Reload
	buffer_load_dword v6, off, s[0:3], s33 offset:424 ; 4-byte Folded Reload
	s_waitcnt vmcnt(0) lgkmcnt(0)
	flat_load_dwordx2 v[42:43], v[5:6] offset:56
	s_waitcnt vmcnt(0) lgkmcnt(0)
	flat_load_dwordx2 v[37:38], v[42:43] glc
	flat_load_dword v1, v[5:6] offset:72
	flat_load_dwordx2 v[48:49], v[5:6] offset:16
	s_waitcnt vmcnt(0) lgkmcnt(0)
	buffer_store_dword v1, off, s[0:3], s33 offset:144 ; 4-byte Folded Spill
.LBB6_40:
	s_or_b64 exec, exec, s[6:7]
.LBB6_41:
	s_or_b64 exec, exec, s[4:5]
	buffer_load_dword v1, off, s[0:3], s33 offset:148 ; 4-byte Folded Reload
	s_waitcnt vmcnt(0)
	v_cmp_eq_u32_e64 s[4:5], 0, v1
	s_and_saveexec_b64 s[6:7], s[4:5]
	s_cbranch_execz .LBB6_43
; %bb.42:
	s_waitcnt lgkmcnt(0)
	flat_load_dwordx2 v[5:6], v[2:3] offset:32
	v_mov_b32_e32 v7, v12
	v_mov_b32_e32 v8, v13
	;; [unrolled: 1-line block ×4, first 2 shown]
	ds_write2_b64 v0, v[7:8], v[9:10] offset1:1
	s_trap 2
	s_waitcnt vmcnt(0) lgkmcnt(0)
	ds_write_b64 v0, v[5:6]
	ds_write_b64 v0, v[14:15]
.LBB6_43:
	s_or_b64 exec, exec, s[6:7]
	s_waitcnt lgkmcnt(0)
	buffer_load_dword v5, off, s[0:3], s33 offset:392 ; 4-byte Folded Reload
	buffer_load_dword v6, off, s[0:3], s33 offset:396 ; 4-byte Folded Reload
	;; [unrolled: 1-line block ×4, first 2 shown]
	v_mov_b32_e32 v56, 0
	v_mov_b32_e32 v57, 0
	s_waitcnt vmcnt(2)
	v_cmp_lt_i64_e32 vcc, 0, v[5:6]
	s_mov_b64 s[6:7], exec
	v_writelane_b32 v62, s6, 2
	v_mov_b32_e32 v15, v17
	v_writelane_b32 v62, s7, 3
	s_and_b64 s[6:7], s[6:7], vcc
	v_mov_b32_e32 v16, v18
	s_mov_b64 exec, s[6:7]
	s_cbranch_execz .LBB6_1210
; %bb.44:
	flat_load_dword v1, v[2:3] offset:4
	v_and_b32_e32 v6, 0x3ffffe00, v4
	buffer_load_dword v3, off, s[0:3], s33 offset:416 ; 4-byte Folded Reload
	buffer_load_dword v5, off, s[0:3], s33 offset:148 ; 4-byte Folded Reload
	;; [unrolled: 1-line block ×4, first 2 shown]
	v_mov_b32_e32 v51, 0
	s_waitcnt vmcnt(0)
	v_mov_b32_e32 v7, v51
	s_trap 2
	v_writelane_b32 v62, s28, 4
	v_writelane_b32 v62, s29, 5
	s_mov_b64 s[12:13], 0
	v_writelane_b32 v62, s12, 6
	v_cmp_ne_u64_e64 s[14:15], 0, v[40:41]
	v_writelane_b32 v62, s13, 7
	v_writelane_b32 v62, s14, 8
	s_ashr_i32 s24, s50, 31
	v_writelane_b32 v62, s15, 9
	s_movk_i32 s9, 0x400
	v_cmp_eq_u64_e64 s[12:13], 0, v[40:41]
	v_mov_b32_e32 v22, 0
	v_mov_b32_e32 v56, 0
	s_movk_i32 s52, 0xfc00
	v_mov_b32_e32 v54, 1
	s_movk_i32 s53, 0x1000
	s_movk_i32 s54, 0xffc0
	;; [unrolled: 1-line block ×3, first 2 shown]
	s_mov_b32 s64, 0x7020500
	s_movk_i32 s65, 0xf840
	s_movk_i32 s66, 0xf880
	;; [unrolled: 1-line block ×25, first 2 shown]
	s_mov_b32 s99, 0xc0c0500
	v_mov_b32_e32 v26, 0xc8
	v_mov_b32_e32 v24, 0x90
	;; [unrolled: 1-line block ×4, first 2 shown]
	v_lshrrev_b32_e32 v53, 6, v3
	v_and_b32_e32 v50, 0x3fc0, v3
	v_and_b32_e32 v2, 63, v2
	v_ashrrev_i32_e32 v39, 31, v4
	buffer_load_dword v4, off, s[0:3], s33 offset:432 ; 4-byte Folded Reload
	s_nop 0
	buffer_store_dword v6, off, s[0:3], s33 offset:352 ; 4-byte Folded Spill
	s_nop 0
	buffer_store_dword v7, off, s[0:3], s33 offset:356 ; 4-byte Folded Spill
	v_cmp_ge_u32_e32 vcc, v5, v3
	v_cmp_eq_u32_e64 s[16:17], 0, v2
	v_subrev_u32_e32 v34, 64, v50
	v_lshlrev_b32_e32 v32, 10, v53
	v_ashrrev_i32_e32 v35, 31, v34
	v_cmp_eq_u32_e64 s[6:7], 64, v3
	v_cmp_ne_u32_e64 s[10:11], 64, v3
	v_lshlrev_b32_e32 v55, 13, v53
	v_lshlrev_b32_e32 v33, 11, v53
	v_mad_i64_i32 v[20:21], s[14:15], v6, s50, 0
	s_waitcnt vmcnt(0)
	v_cmp_ne_u32_sdwa s[56:57], v3, v4 src0_sel:DWORD src1_sel:WORD_0
	v_and_b32_e32 v4, 63, v5
	s_add_u32 s14, s50, -1
	v_lshrrev_b32_e32 v5, 6, v5
	v_writelane_b32 v62, s14, 10
	v_cmp_lt_u32_e64 s[20:21], v4, v0
	v_lshlrev_b32_e32 v2, 4, v4
	v_cmp_le_u32_e64 s[22:23], v4, v0
	v_lshlrev_b32_e32 v0, 12, v53
	buffer_store_dword v0, off, s[0:3], s33 offset:108 ; 4-byte Folded Spill
	v_writelane_b32 v62, s24, 11
	s_addc_u32 s14, s24, -1
	v_lshl_or_b32 v0, v5, 12, v2
	v_add_co_u32_e64 v27, s[24:25], 64, v34
	buffer_store_dword v0, off, s[0:3], s33 offset:284 ; 4-byte Folded Spill
	v_add_u32_e32 v0, 0xfffffc00, v32
	v_addc_co_u32_e64 v25, s[24:25], 0, v35, s[24:25]
	v_lshl_or_b32 v36, v5, 13, v2
	v_ashrrev_i32_e32 v2, 31, v0
	buffer_store_dword v0, off, s[0:3], s33 offset:152 ; 4-byte Folded Spill
	v_add_co_u32_e64 v0, s[24:25], s9, v0
	buffer_store_dword v4, off, s[0:3], s33 offset:340 ; 4-byte Folded Spill
	buffer_store_dword v5, off, s[0:3], s33 offset:228 ; 4-byte Folded Spill
	;; [unrolled: 1-line block ×4, first 2 shown]
	v_addc_co_u32_e64 v0, s[24:25], 0, v2, s[24:25]
	buffer_store_dword v0, off, s[0:3], s33 offset:164 ; 4-byte Folded Spill
	s_waitcnt lgkmcnt(0)
	v_and_b32_e32 v0, 1, v1
	v_cmp_eq_u32_e64 s[24:25], 1, v0
	buffer_load_dword v0, off, s[0:3], s33 offset:392 ; 4-byte Folded Reload
	buffer_load_dword v1, off, s[0:3], s33 offset:396 ; 4-byte Folded Reload
	;; [unrolled: 1-line block ×4, first 2 shown]
	v_writelane_b32 v62, s14, 12
	s_add_i32 s26, s50, s50
	s_not_b32 s14, s50
	s_cmp_gt_i32 s50, 0
	s_cselect_b32 s14, s14, -1
	s_ashr_i32 s15, s8, 31
	s_lshr_b32 s9, s15, 25
	v_writelane_b32 v62, s26, 13
	s_add_i32 s14, s14, s26
	s_add_i32 s8, s8, s9
	v_writelane_b32 v62, s14, 14
	s_ashr_i32 s14, s14, 31
	s_ashr_i32 s98, s8, 7
	s_cmp_gt_i32 s50, 2
	v_writelane_b32 v62, s14, 15
	s_cselect_b64 s[8:9], -1, 0
	v_writelane_b32 v62, s8, 16
	v_writelane_b32 v62, s9, 17
	s_add_i32 s8, s50, 1
	s_xor_b64 s[62:63], s[24:25], -1
	s_cmp_ge_i32 s8, s50
	s_cselect_b32 s9, s50, 0
	s_add_i32 s14, s50, -2
	v_writelane_b32 v62, s14, 18
	s_sub_i32 s8, s8, s9
	v_writelane_b32 v62, s8, 19
	s_ashr_i32 s8, s8, 31
	v_cmp_eq_u32_e64 s[18:19], 0, v4
	s_xor_b64 s[72:73], vcc, -1
	v_writelane_b32 v62, s8, 20
	s_movk_i32 s9, 0xfc40
	s_movk_i32 s8, 0xfc80
	;; [unrolled: 1-line block ×4, first 2 shown]
	buffer_store_dword v42, off, s[0:3], s33 offset:288 ; 4-byte Folded Spill
	s_nop 0
	buffer_store_dword v43, off, s[0:3], s33 offset:292 ; 4-byte Folded Spill
	buffer_store_dword v48, off, s[0:3], s33 offset:260 ; 4-byte Folded Spill
	s_nop 0
	buffer_store_dword v49, off, s[0:3], s33 offset:264 ; 4-byte Folded Spill
	;; [unrolled: 3-line block ×3, first 2 shown]
	buffer_store_dword v39, off, s[0:3], s33 offset:204 ; 4-byte Folded Spill
	buffer_store_dword v53, off, s[0:3], s33 offset:56 ; 4-byte Folded Spill
	;; [unrolled: 1-line block ×4, first 2 shown]
	s_nop 0
	buffer_store_dword v21, off, s[0:3], s33 offset:256 ; 4-byte Folded Spill
	buffer_store_dword v55, off, s[0:3], s33 offset:248 ; 4-byte Folded Spill
	;; [unrolled: 1-line block ×9, first 2 shown]
	s_branch .LBB6_47
.LBB6_45:                               ;   in Loop: Header=BB6_47 Depth=1
	s_or_b64 exec, exec, s[40:41]
.LBB6_46:                               ;   in Loop: Header=BB6_47 Depth=1
	s_or_b64 exec, exec, s[28:29]
	buffer_load_dword v0, off, s[0:3], s33 offset:392 ; 4-byte Folded Reload
	buffer_load_dword v1, off, s[0:3], s33 offset:396 ; 4-byte Folded Reload
	;; [unrolled: 1-line block ×4, first 2 shown]
	s_waitcnt vmcnt(0)
	v_add_co_u32_e32 v22, vcc, v22, v20
	v_addc_co_u32_e32 v23, vcc, v23, v21, vcc
	v_readlane_b32 s26, v62, 6
	v_readlane_b32 s27, v62, 7
	v_cmp_ge_i64_e32 vcc, v[22:23], v[0:1]
	s_or_b64 s[26:27], vcc, s[26:27]
	v_writelane_b32 v62, s26, 6
	v_writelane_b32 v62, s27, 7
	s_andn2_b64 exec, exec, s[26:27]
	s_cbranch_execz .LBB6_1209
.LBB6_47:                               ; =>This Loop Header: Depth=1
                                        ;     Child Loop BB6_57 Depth 2
                                        ;       Child Loop BB6_65 Depth 3
                                        ;       Child Loop BB6_89 Depth 3
	;; [unrolled: 1-line block ×9, first 2 shown]
                                        ;     Child Loop BB6_197 Depth 2
                                        ;       Child Loop BB6_203 Depth 3
                                        ;       Child Loop BB6_227 Depth 3
                                        ;       Child Loop BB6_251 Depth 3
                                        ;     Child Loop BB6_269 Depth 2
                                        ;       Child Loop BB6_272 Depth 3
                                        ;         Child Loop BB6_280 Depth 4
                                        ;         Child Loop BB6_308 Depth 4
	;; [unrolled: 1-line block ×9, first 2 shown]
                                        ;       Child Loop BB6_416 Depth 3
                                        ;         Child Loop BB6_422 Depth 4
                                        ;         Child Loop BB6_450 Depth 4
	;; [unrolled: 1-line block ×3, first 2 shown]
                                        ;     Child Loop BB6_491 Depth 2
                                        ;       Child Loop BB6_499 Depth 3
                                        ;       Child Loop BB6_527 Depth 3
	;; [unrolled: 1-line block ×5, first 2 shown]
                                        ;         Child Loop BB6_574 Depth 4
                                        ;       Child Loop BB6_588 Depth 3
                                        ;       Child Loop BB6_593 Depth 3
                                        ;         Child Loop BB6_594 Depth 4
                                        ;       Child Loop BB6_606 Depth 3
                                        ;       Child Loop BB6_611 Depth 3
	;; [unrolled: 1-line block ×6, first 2 shown]
                                        ;     Child Loop BB6_672 Depth 2
                                        ;       Child Loop BB6_678 Depth 3
                                        ;       Child Loop BB6_706 Depth 3
	;; [unrolled: 1-line block ×3, first 2 shown]
                                        ;     Child Loop BB6_747 Depth 2
                                        ;       Child Loop BB6_750 Depth 3
                                        ;         Child Loop BB6_758 Depth 4
                                        ;         Child Loop BB6_786 Depth 4
	;; [unrolled: 1-line block ×9, first 2 shown]
                                        ;           Child Loop BB6_840 Depth 5
                                        ;         Child Loop BB6_847 Depth 4
                                        ;         Child Loop BB6_852 Depth 4
                                        ;           Child Loop BB6_853 Depth 5
                                        ;         Child Loop BB6_889 Depth 4
                                        ;         Child Loop BB6_908 Depth 4
                                        ;       Child Loop BB6_927 Depth 3
                                        ;         Child Loop BB6_933 Depth 4
                                        ;         Child Loop BB6_961 Depth 4
	;; [unrolled: 1-line block ×3, first 2 shown]
                                        ;     Child Loop BB6_1005 Depth 2
                                        ;       Child Loop BB6_1013 Depth 3
                                        ;       Child Loop BB6_1037 Depth 3
	;; [unrolled: 1-line block ×9, first 2 shown]
                                        ;     Child Loop BB6_1143 Depth 2
                                        ;       Child Loop BB6_1149 Depth 3
                                        ;       Child Loop BB6_1173 Depth 3
	;; [unrolled: 1-line block ×3, first 2 shown]
	s_waitcnt vmcnt(0)
	v_sub_co_u32_e32 v0, vcc, v0, v22
	s_waitcnt vmcnt(21)
	v_subb_co_u32_e32 v1, vcc, v1, v23, vcc
	buffer_store_dword v0, off, s[0:3], s33 offset:344 ; 4-byte Folded Spill
	s_nop 0
	buffer_store_dword v1, off, s[0:3], s33 offset:348 ; 4-byte Folded Spill
	v_cmp_lt_i64_e32 vcc, v[0:1], v[20:21]
	s_and_saveexec_b64 s[28:29], vcc
	s_cbranch_execz .LBB6_53
; %bb.48:                               ;   in Loop: Header=BB6_47 Depth=1
	buffer_load_dword v2, off, s[0:3], s33 offset:344 ; 4-byte Folded Reload
	buffer_load_dword v3, off, s[0:3], s33 offset:348 ; 4-byte Folded Reload
	v_readlane_b32 s26, v62, 12
	v_mov_b32_e32 v1, s26
	v_readlane_b32 s26, v62, 10
	s_waitcnt vmcnt(0)
	v_add_co_u32_e32 v0, vcc, s26, v2
	s_waitcnt vmcnt(0)
	v_addc_co_u32_e32 v1, vcc, v1, v3, vcc
	v_readlane_b32 s26, v62, 11
	v_or_b32_e32 v52, s26, v1
	v_cmp_ne_u64_e32 vcc, 0, v[51:52]
                                        ; implicit-def: $vgpr3_vgpr4
	s_and_saveexec_b64 s[26:27], vcc
	s_xor_b64 s[40:41], exec, s[26:27]
	s_cbranch_execz .LBB6_50
; %bb.49:                               ;   in Loop: Header=BB6_47 Depth=1
	v_readlane_b32 s27, v62, 11
	s_ashr_i32 s42, s27, 31
	s_add_u32 s26, s50, s42
	s_mov_b32 s43, s42
	s_addc_u32 s27, s27, s42
	s_xor_b64 s[74:75], s[26:27], s[42:43]
	v_cvt_f32_u32_e32 v2, s74
	v_cvt_f32_u32_e32 v3, s75
	s_sub_u32 s43, 0, s74
	s_subb_u32 s76, 0, s75
	v_ashrrev_i32_e32 v4, 31, v1
	v_mac_f32_e32 v2, 0x4f800000, v3
	v_rcp_f32_e32 v2, v2
	v_add_co_u32_e32 v0, vcc, v0, v4
	v_xor_b32_e32 v5, v0, v4
	v_mul_f32_e32 v2, 0x5f7ffffc, v2
	v_mul_f32_e32 v3, 0x2f800000, v2
	v_trunc_f32_e32 v3, v3
	v_mac_f32_e32 v2, 0xcf800000, v3
	v_cvt_u32_f32_e32 v3, v3
	v_cvt_u32_f32_e32 v2, v2
	v_readfirstlane_b32 s77, v3
	v_readfirstlane_b32 s26, v2
	s_mul_i32 s27, s43, s77
	s_mul_hi_u32 s79, s43, s26
	s_mul_i32 s78, s76, s26
	s_add_i32 s27, s79, s27
	s_add_i32 s27, s27, s78
	s_mul_i32 s88, s43, s26
	s_mul_i32 s79, s26, s27
	s_mul_hi_u32 s89, s26, s88
	s_mul_hi_u32 s78, s26, s27
	s_add_u32 s79, s89, s79
	s_addc_u32 s78, 0, s78
	s_mul_hi_u32 s90, s77, s88
	s_mul_i32 s88, s77, s88
	s_add_u32 s79, s79, s88
	s_mul_hi_u32 s89, s77, s27
	s_addc_u32 s78, s78, s90
	s_addc_u32 s79, s89, 0
	s_mul_i32 s27, s77, s27
	s_add_u32 s27, s78, s27
	s_addc_u32 s78, 0, s79
	s_add_u32 s79, s26, s27
	s_cselect_b64 s[26:27], -1, 0
	s_cmp_lg_u64 s[26:27], 0
	s_addc_u32 s77, s77, s78
	s_mul_i32 s26, s43, s77
	s_mul_hi_u32 s27, s43, s79
	s_add_i32 s26, s27, s26
	s_mul_i32 s76, s76, s79
	s_add_i32 s26, s26, s76
	s_mul_i32 s43, s43, s79
	s_mul_hi_u32 s76, s77, s43
	s_mul_i32 s78, s77, s43
	s_mul_i32 s89, s79, s26
	s_mul_hi_u32 s43, s79, s43
	s_mul_hi_u32 s88, s79, s26
	s_add_u32 s43, s43, s89
	s_addc_u32 s88, 0, s88
	s_add_u32 s43, s43, s78
	s_mul_hi_u32 s27, s77, s26
	s_addc_u32 s43, s88, s76
	s_addc_u32 s27, s27, 0
	s_mul_i32 s26, s77, s26
	s_add_u32 s26, s43, s26
	s_addc_u32 s43, 0, s27
	s_add_u32 s76, s79, s26
	s_cselect_b64 s[26:27], -1, 0
	s_cmp_lg_u64 s[26:27], 0
	s_addc_u32 s43, s77, s43
	v_addc_co_u32_e32 v2, vcc, v1, v4, vcc
	v_mad_u64_u32 v[0:1], s[26:27], v5, s43, 0
	v_mul_hi_u32 v3, v5, s76
	v_xor_b32_e32 v6, v2, v4
	v_add_co_u32_e32 v7, vcc, v3, v0
	v_addc_co_u32_e32 v8, vcc, 0, v1, vcc
	v_mad_u64_u32 v[0:1], s[26:27], v6, s76, 0
	v_mad_u64_u32 v[2:3], s[26:27], v6, s43, 0
	v_add_co_u32_e32 v0, vcc, v7, v0
	v_addc_co_u32_e32 v0, vcc, v8, v1, vcc
	v_addc_co_u32_e32 v1, vcc, 0, v3, vcc
	v_add_co_u32_e32 v2, vcc, v0, v2
	v_addc_co_u32_e32 v3, vcc, 0, v1, vcc
	v_mul_lo_u32 v7, s75, v2
	v_mul_lo_u32 v8, s74, v3
	v_mad_u64_u32 v[0:1], s[26:27], s74, v2, 0
	v_add3_u32 v1, v1, v8, v7
	v_sub_u32_e32 v7, v6, v1
	v_mov_b32_e32 v8, s75
	v_sub_co_u32_e32 v0, vcc, v5, v0
	v_subb_co_u32_e64 v5, s[26:27], v7, v8, vcc
	v_subrev_co_u32_e64 v7, s[26:27], s74, v0
	v_subbrev_co_u32_e64 v5, s[26:27], 0, v5, s[26:27]
	v_cmp_le_u32_e64 s[26:27], s75, v5
	v_cndmask_b32_e64 v8, 0, -1, s[26:27]
	v_cmp_le_u32_e64 s[26:27], s74, v7
	v_cndmask_b32_e64 v7, 0, -1, s[26:27]
	v_cmp_eq_u32_e64 s[26:27], s75, v5
	v_cndmask_b32_e64 v5, v8, v7, s[26:27]
	v_add_co_u32_e64 v7, s[26:27], 2, v2
	v_subb_co_u32_e32 v1, vcc, v6, v1, vcc
	v_addc_co_u32_e64 v8, s[26:27], 0, v3, s[26:27]
	v_cmp_le_u32_e32 vcc, s75, v1
	v_add_co_u32_e64 v9, s[26:27], 1, v2
	v_cndmask_b32_e64 v6, 0, -1, vcc
	v_cmp_le_u32_e32 vcc, s74, v0
	v_addc_co_u32_e64 v10, s[26:27], 0, v3, s[26:27]
	v_cndmask_b32_e64 v0, 0, -1, vcc
	v_cmp_eq_u32_e32 vcc, s75, v1
	v_cmp_ne_u32_e64 s[26:27], 0, v5
	v_cndmask_b32_e32 v0, v6, v0, vcc
	v_cmp_ne_u32_e32 vcc, 0, v0
	v_cndmask_b32_e64 v1, v9, v7, s[26:27]
	v_cndmask_b32_e64 v5, v10, v8, s[26:27]
	v_cndmask_b32_e32 v1, v2, v1, vcc
	v_xor_b32_e32 v2, s42, v4
	v_cndmask_b32_e32 v0, v3, v5, vcc
	v_xor_b32_e32 v1, v1, v2
	v_xor_b32_e32 v0, v0, v2
	v_sub_co_u32_e32 v3, vcc, v1, v2
	v_subb_co_u32_e32 v4, vcc, v0, v2, vcc
                                        ; implicit-def: $vgpr0
.LBB6_50:                               ;   in Loop: Header=BB6_47 Depth=1
	s_andn2_saveexec_b64 s[26:27], s[40:41]
	s_cbranch_execz .LBB6_52
; %bb.51:                               ;   in Loop: Header=BB6_47 Depth=1
	v_cvt_f32_u32_e32 v1, s50
	s_sub_i32 s40, 0, s50
	v_mov_b32_e32 v4, v51
	v_rcp_iflag_f32_e32 v1, v1
	v_mul_f32_e32 v1, 0x4f7ffffe, v1
	v_cvt_u32_f32_e32 v1, v1
	v_mul_lo_u32 v2, s40, v1
	v_mul_hi_u32 v2, v1, v2
	v_add_u32_e32 v1, v1, v2
	v_mul_hi_u32 v1, v0, v1
	v_mul_lo_u32 v2, v1, s50
	v_add_u32_e32 v3, 1, v1
	v_sub_u32_e32 v0, v0, v2
	v_subrev_u32_e32 v2, s50, v0
	v_cmp_le_u32_e32 vcc, s50, v0
	v_cndmask_b32_e32 v0, v0, v2, vcc
	v_cndmask_b32_e32 v1, v1, v3, vcc
	v_add_u32_e32 v2, 1, v1
	v_cmp_le_u32_e32 vcc, s50, v0
	v_cndmask_b32_e32 v3, v1, v2, vcc
.LBB6_52:                               ;   in Loop: Header=BB6_47 Depth=1
	s_or_b64 exec, exec, s[26:27]
	v_add_co_u32_e32 v0, vcc, 15, v3
	v_addc_co_u32_e32 v1, vcc, 0, v4, vcc
	v_and_b32_e32 v0, -16, v0
	buffer_store_dword v0, off, s[0:3], s33 offset:352 ; 4-byte Folded Spill
	s_nop 0
	buffer_store_dword v1, off, s[0:3], s33 offset:356 ; 4-byte Folded Spill
.LBB6_53:                               ;   in Loop: Header=BB6_47 Depth=1
	s_or_b64 exec, exec, s[28:29]
	buffer_load_dword v2, off, s[0:3], s33 offset:352 ; 4-byte Folded Reload
	buffer_load_dword v3, off, s[0:3], s33 offset:356 ; 4-byte Folded Reload
	v_readlane_b32 s26, v62, 14
	v_readlane_b32 s27, v62, 15
	v_mov_b32_e32 v7, 0
	s_waitcnt vmcnt(0)
	v_mul_lo_u32 v1, v2, s27
	s_waitcnt vmcnt(0)
	v_mul_lo_u32 v0, v3, s26
	v_mad_u64_u32 v[8:9], s[26:27], v2, s26, 0
	v_add3_u32 v9, v9, v1, v0
	buffer_load_dword v0, off, s[0:3], s33 offset:408 ; 4-byte Folded Reload
	buffer_load_dword v1, off, s[0:3], s33 offset:412 ; 4-byte Folded Reload
	s_waitcnt vmcnt(0)
	v_add_co_u32_e32 v0, vcc, v22, v0
	buffer_store_dword v0, off, s[0:3], s33 offset:176 ; 4-byte Folded Spill
	s_waitcnt vmcnt(1)
	v_addc_co_u32_e32 v0, vcc, v23, v1, vcc
	buffer_store_dword v0, off, s[0:3], s33 offset:180 ; 4-byte Folded Spill
	buffer_load_dword v0, off, s[0:3], s33 offset:344 ; 4-byte Folded Reload
	s_nop 0
	buffer_load_dword v1, off, s[0:3], s33 offset:348 ; 4-byte Folded Reload
	s_waitcnt vmcnt(0)
	v_sub_co_u32_e32 v0, vcc, v0, v8
	s_waitcnt vmcnt(0)
	v_subb_co_u32_e32 v1, vcc, v1, v9, vcc
	v_cmp_lt_i64_e32 vcc, v[2:3], v[0:1]
	v_mov_b32_e32 v1, 0
	v_cndmask_b32_e32 v2, v0, v2, vcc
	v_max_i32_e32 v0, 0, v2
	v_add_u32_e32 v3, 31, v0
	v_lshrrev_b32_e32 v3, 1, v3
	v_and_b32_e32 v3, 0x3ffffff0, v3
	v_max_i32_e32 v4, s98, v3
	v_cmp_lt_i32_e32 vcc, 0, v2
	s_and_b64 s[26:27], s[72:73], vcc
	s_mov_b64 s[28:29], exec
	s_and_b64 s[26:27], s[28:29], s[26:27]
	buffer_store_dword v22, off, s[0:3], s33 offset:168 ; 4-byte Folded Spill
	s_nop 0
	buffer_store_dword v23, off, s[0:3], s33 offset:172 ; 4-byte Folded Spill
	s_mov_b64 exec, s[26:27]
	s_cbranch_execz .LBB6_193
; %bb.54:                               ;   in Loop: Header=BB6_47 Depth=1
	s_mov_b32 s48, 1
	s_mov_b64 s[42:43], -1
	v_mov_b32_e32 v7, 0
	s_mov_b64 s[40:41], 0
	s_branch .LBB6_57
.LBB6_55:                               ;   in Loop: Header=BB6_57 Depth=2
	s_or_b64 exec, exec, s[74:75]
	v_add_co_u32_e32 v15, vcc, 2, v15
	v_addc_co_u32_e32 v16, vcc, 0, v16, vcc
	s_waitcnt vmcnt(0)
	flat_store_dwordx2 v[42:43], v[15:16]
.LBB6_56:                               ;   in Loop: Header=BB6_57 Depth=2
	s_or_b64 exec, exec, s[26:27]
	v_add_u32_e32 v7, v4, v7
	v_cmp_ge_i32_e32 vcc, v7, v0
	s_xor_b64 s[26:27], s[42:43], -1
	s_or_b64 s[26:27], s[26:27], vcc
	s_and_b64 s[26:27], exec, s[26:27]
	s_or_b64 s[40:41], s[26:27], s[40:41]
	s_mov_b64 s[42:43], 0
	v_mov_b32_e32 v1, s48
	s_mov_b32 s48, 2
	s_andn2_b64 exec, exec, s[40:41]
	s_cbranch_execz .LBB6_192
.LBB6_57:                               ;   Parent Loop BB6_47 Depth=1
                                        ; =>  This Loop Header: Depth=2
                                        ;       Child Loop BB6_65 Depth 3
                                        ;       Child Loop BB6_89 Depth 3
	;; [unrolled: 1-line block ×9, first 2 shown]
	s_and_saveexec_b64 s[26:27], s[4:5]
	s_cbranch_execz .LBB6_59
; %bb.58:                               ;   in Loop: Header=BB6_57 Depth=2
	s_trap 2
	buffer_load_dword v3, off, s[0:3], s33 offset:176 ; 4-byte Folded Reload
	ds_read_b64 v[1:2], v0
	v_mov_b32_e32 v52, v51
	ds_write_b64 v0, v[51:52]
	s_waitcnt vmcnt(0) lgkmcnt(0)
	v_add_co_u32_e32 v1, vcc, v1, v3
	buffer_load_dword v3, off, s[0:3], s33 offset:180 ; 4-byte Folded Reload
	s_waitcnt vmcnt(0)
	v_addc_co_u32_e32 v2, vcc, v2, v3, vcc
	v_add_co_u32_e32 v1, vcc, v1, v8
	v_addc_co_u32_e32 v2, vcc, v2, v9, vcc
	v_ashrrev_i32_e32 v3, 31, v7
	v_add_co_u32_e32 v1, vcc, v1, v7
	v_addc_co_u32_e32 v2, vcc, v2, v3, vcc
	ds_write_b64 v0, v[1:2]
.LBB6_59:                               ;   in Loop: Header=BB6_57 Depth=2
	s_or_b64 exec, exec, s[26:27]
	v_sub_u32_e32 v1, v0, v7
	v_min_i32_e32 v4, v4, v1
	v_and_b32_e32 v1, 8, v45
	v_cmp_ne_u32_e32 vcc, 0, v1
	s_and_saveexec_b64 s[74:75], vcc
	s_cbranch_execz .LBB6_81
; %bb.60:                               ;   in Loop: Header=BB6_57 Depth=2
	s_waitcnt vmcnt(0) lgkmcnt(0)
	v_add_co_u32_e32 v1, vcc, 8, v37
	v_addc_co_u32_e32 v2, vcc, 0, v38, vcc
	v_add_co_u32_e32 v10, vcc, 2, v15
	v_addc_co_u32_e32 v11, vcc, 0, v16, vcc
	v_cmp_lt_u64_e32 vcc, v[1:2], v[10:11]
	s_and_saveexec_b64 s[76:77], vcc
	s_cbranch_execz .LBB6_72
; %bb.61:                               ;   in Loop: Header=BB6_57 Depth=2
	v_and_b32_e32 v1, 64, v45
	s_mov_b32 s49, 0
	v_cmp_eq_u32_e32 vcc, 0, v1
	s_mov_b64 s[78:79], 0
                                        ; implicit-def: $sgpr88_sgpr89
                                        ; implicit-def: $sgpr90_sgpr91
                                        ; implicit-def: $sgpr92_sgpr93
	s_branch .LBB6_65
.LBB6_62:                               ;   in Loop: Header=BB6_65 Depth=3
	s_waitcnt vmcnt(0) lgkmcnt(0)
	v_add_co_u32_e64 v2, s[26:27], 8, v37
	v_addc_co_u32_e64 v3, s[26:27], 0, v38, s[26:27]
	v_cmp_ge_u64_e64 s[26:27], v[2:3], v[10:11]
	s_or_b64 s[34:35], s[34:35], exec
	s_orn2_b64 s[30:31], s[26:27], exec
.LBB6_63:                               ;   in Loop: Header=BB6_65 Depth=3
	s_or_b64 exec, exec, s[38:39]
	s_andn2_b64 s[26:27], s[92:93], exec
	s_and_b64 s[92:93], s[34:35], exec
	s_or_b64 s[92:93], s[26:27], s[92:93]
	s_andn2_b64 s[26:27], s[90:91], exec
	s_and_b64 s[90:91], s[30:31], exec
	s_or_b64 s[90:91], s[26:27], s[90:91]
.LBB6_64:                               ;   in Loop: Header=BB6_65 Depth=3
	s_or_b64 exec, exec, s[94:95]
	s_and_b64 s[26:27], exec, s[90:91]
	s_or_b64 s[78:79], s[26:27], s[78:79]
	s_andn2_b64 s[26:27], s[88:89], exec
	s_and_b64 s[88:89], s[92:93], exec
	s_or_b64 s[88:89], s[26:27], s[88:89]
	s_andn2_b64 exec, exec, s[78:79]
	s_cbranch_execz .LBB6_69
.LBB6_65:                               ;   Parent Loop BB6_47 Depth=1
                                        ;     Parent Loop BB6_57 Depth=2
                                        ; =>    This Inner Loop Header: Depth=3
	s_sleep 1
	s_waitcnt vmcnt(0) lgkmcnt(0)
	flat_load_dwordx2 v[37:38], v[42:43] glc
	s_or_b64 s[92:93], s[92:93], exec
	s_or_b64 s[90:91], s[90:91], exec
                                        ; implicit-def: $vgpr1
	s_and_saveexec_b64 s[94:95], vcc
	s_cbranch_execz .LBB6_64
; %bb.66:                               ;   in Loop: Header=BB6_65 Depth=3
	s_cmpk_lt_i32 s49, 0x270f
	s_cselect_b64 s[36:37], -1, 0
	s_cmpk_gt_i32 s49, 0x270e
	s_mov_b64 s[30:31], -1
	s_cbranch_scc0 .LBB6_68
; %bb.67:                               ;   in Loop: Header=BB6_65 Depth=3
	s_trap 2
	ds_read_b64 v[1:2], v0
	s_andn2_b64 s[36:37], s[36:37], exec
	s_mov_b32 s49, 0
	s_mov_b64 s[34:35], 0
	s_waitcnt vmcnt(0) lgkmcnt(0)
	flat_load_dword v1, v[1:2] glc
	s_waitcnt vmcnt(0) lgkmcnt(0)
	buffer_wbinvl1_vol
	v_cmp_eq_u32_e64 s[26:27], 0, v1
	s_and_b64 s[26:27], s[26:27], exec
	s_or_b64 s[36:37], s[36:37], s[26:27]
	s_and_saveexec_b64 s[38:39], s[36:37]
	s_cbranch_execz .LBB6_63
	s_branch .LBB6_62
.LBB6_68:                               ;   in Loop: Header=BB6_65 Depth=3
	s_add_i32 s49, s49, 1
	s_mov_b64 s[34:35], -1
                                        ; implicit-def: $vgpr1
	s_and_saveexec_b64 s[38:39], s[36:37]
	s_cbranch_execz .LBB6_63
	s_branch .LBB6_62
.LBB6_69:                               ;   in Loop: Header=BB6_57 Depth=2
	s_or_b64 exec, exec, s[78:79]
	s_xor_b64 s[26:27], s[88:89], -1
	s_and_saveexec_b64 s[78:79], s[26:27]
	s_xor_b64 s[26:27], exec, s[78:79]
	s_cbranch_execz .LBB6_71
; %bb.70:                               ;   in Loop: Header=BB6_57 Depth=2
	v_or_b32_e32 v45, 64, v45
	s_waitcnt lgkmcnt(0)
	ds_write_b32 v0, v1
	s_trap 2
.LBB6_71:                               ;   in Loop: Header=BB6_57 Depth=2
	s_or_b64 exec, exec, s[26:27]
.LBB6_72:                               ;   in Loop: Header=BB6_57 Depth=2
	s_or_b64 exec, exec, s[76:77]
	v_and_b32_e32 v1, 0x100, v45
	v_cmp_ne_u32_e32 vcc, 0, v1
	v_and_b32_e32 v1, 7, v15
	s_mov_b64 s[26:27], -1
	;;#ASMSTART
	s_wakeup
	;;#ASMEND
                                        ; implicit-def: $vgpr12_vgpr13
	s_and_saveexec_b64 s[76:77], vcc
	s_cbranch_execz .LBB6_76
; %bb.73:                               ;   in Loop: Header=BB6_57 Depth=2
	buffer_load_dword v12, off, s[0:3], s33 offset:120 ; 4-byte Folded Reload
	buffer_load_dword v13, off, s[0:3], s33 offset:124 ; 4-byte Folded Reload
	;; [unrolled: 1-line block ×4, first 2 shown]
	v_ashrrev_i32_e32 v5, 31, v4
	s_waitcnt vmcnt(0)
	v_mad_u64_u32 v[14:15], s[26:27], v1, 24, v[12:13]
                                        ; implicit-def: $vgpr12_vgpr13
	flat_load_dword v2, v[14:15]
	s_nop 0
	flat_store_dwordx2 v[14:15], v[4:5] offset:8
	s_waitcnt vmcnt(0) lgkmcnt(0)
	v_cmp_ne_u32_e32 vcc, 1, v2
	v_cmp_eq_u32_e64 s[26:27], 1, v2
	s_and_saveexec_b64 s[78:79], s[26:27]
	s_cbranch_execz .LBB6_75
; %bb.74:                               ;   in Loop: Header=BB6_57 Depth=2
	flat_load_dword v12, v[14:15] offset:4 glc
	s_waitcnt vmcnt(0) lgkmcnt(0)
	v_ashrrev_i32_e32 v13, 31, v12
.LBB6_75:                               ;   in Loop: Header=BB6_57 Depth=2
	s_or_b64 exec, exec, s[78:79]
	s_orn2_b64 s[26:27], vcc, exec
.LBB6_76:                               ;   in Loop: Header=BB6_57 Depth=2
	s_or_b64 exec, exec, s[76:77]
	s_and_saveexec_b64 s[76:77], s[26:27]
	s_cbranch_execz .LBB6_78
; %bb.77:                               ;   in Loop: Header=BB6_57 Depth=2
	buffer_load_dword v2, off, s[0:3], s33 offset:144 ; 4-byte Folded Reload
	s_waitcnt vmcnt(0)
	v_mad_i64_i32 v[12:13], s[26:27], v1, v2, 0
.LBB6_78:                               ;   in Loop: Header=BB6_57 Depth=2
	s_or_b64 exec, exec, s[76:77]
	v_add_co_u32_e32 v1, vcc, v48, v12
	v_addc_co_u32_e32 v2, vcc, v49, v13, vcc
	ds_write_b64 v0, v[1:2] offset:784
	v_and_b32_e32 v1, 0x2000, v45
	v_cmp_ne_u32_e32 vcc, 0, v1
	s_and_saveexec_b64 s[26:27], vcc
	s_cbranch_execz .LBB6_80
; %bb.79:                               ;   in Loop: Header=BB6_57 Depth=2
	ds_read_b64 v[1:2], v0 offset:872
	s_waitcnt lgkmcnt(0)
	v_add_co_u32_e32 v1, vcc, 1, v1
	v_addc_co_u32_e32 v2, vcc, 0, v2, vcc
	ds_write_b64 v0, v[1:2] offset:872
.LBB6_80:                               ;   in Loop: Header=BB6_57 Depth=2
	s_or_b64 exec, exec, s[26:27]
	v_mov_b32_e32 v16, v11
	v_mov_b32_e32 v15, v10
.LBB6_81:                               ;   in Loop: Header=BB6_57 Depth=2
	s_or_b64 exec, exec, s[74:75]
	s_and_saveexec_b64 s[26:27], s[10:11]
	s_cbranch_execz .LBB6_100
; %bb.82:                               ;   in Loop: Header=BB6_57 Depth=2
	s_and_saveexec_b64 s[74:75], s[56:57]
	s_xor_b64 s[74:75], exec, s[74:75]
	s_cbranch_execz .LBB6_97
; %bb.83:                               ;   in Loop: Header=BB6_57 Depth=2
	s_and_saveexec_b64 s[76:77], s[16:17]
	s_cbranch_execz .LBB6_96
; %bb.84:                               ;   in Loop: Header=BB6_57 Depth=2
	s_mov_b64 s[88:89], exec
	v_mbcnt_lo_u32_b32 v1, s88, 0
	v_mbcnt_hi_u32_b32 v1, s89, v1
	v_cmp_eq_u32_e32 vcc, 0, v1
	s_waitcnt vmcnt(0) lgkmcnt(0)
	buffer_wbinvl1_vol
	s_and_saveexec_b64 s[78:79], vcc
	s_cbranch_execz .LBB6_86
; %bb.85:                               ;   in Loop: Header=BB6_57 Depth=2
	s_bcnt1_i32_b64 s88, s[88:89]
	v_mov_b32_e32 v1, s88
	v_mov_b32_e32 v2, v51
	ds_add_u64 v0, v[1:2]
	s_trap 2
.LBB6_86:                               ;   in Loop: Header=BB6_57 Depth=2
	s_or_b64 exec, exec, s[78:79]
	s_trap 2
	ds_read_b64 v[1:2], v0
	s_waitcnt lgkmcnt(0)
	v_add_co_u32_e32 v56, vcc, v56, v53
	v_addc_co_u32_e32 v57, vcc, 0, v57, vcc
	v_cmp_lt_u64_e32 vcc, v[1:2], v[56:57]
	s_and_saveexec_b64 s[78:79], vcc
	s_cbranch_execz .LBB6_95
; %bb.87:                               ;   in Loop: Header=BB6_57 Depth=2
	s_mov_b32 s34, 0
	s_mov_b64 s[88:89], 0
                                        ; implicit-def: $sgpr90_sgpr91
                                        ; implicit-def: $sgpr92_sgpr93
	s_branch .LBB6_89
.LBB6_88:                               ;   in Loop: Header=BB6_89 Depth=3
	s_or_b64 exec, exec, s[30:31]
	s_and_b64 s[94:95], exec, vcc
	s_or_b64 s[88:89], s[94:95], s[88:89]
	s_andn2_b64 s[90:91], s[90:91], exec
	s_and_b64 s[94:95], s[92:93], exec
	s_or_b64 s[90:91], s[90:91], s[94:95]
	s_andn2_b64 exec, exec, s[88:89]
	s_cbranch_execz .LBB6_93
.LBB6_89:                               ;   Parent Loop BB6_47 Depth=1
                                        ;     Parent Loop BB6_57 Depth=2
                                        ; =>    This Inner Loop Header: Depth=3
	s_add_i32 s34, s34, 1
	s_cmpk_lg_i32 s34, 0x2710
	s_cselect_b64 s[94:95], -1, 0
	s_and_b64 vcc, exec, s[94:95]
	s_cbranch_vccz .LBB6_91
; %bb.90:                               ;   in Loop: Header=BB6_89 Depth=3
	s_mov_b64 vcc, -1
	s_or_b64 s[92:93], s[92:93], exec
	s_and_saveexec_b64 s[30:31], s[94:95]
	s_cbranch_execz .LBB6_88
	s_branch .LBB6_92
.LBB6_91:                               ;   in Loop: Header=BB6_89 Depth=3
	s_trap 2
	ds_read_b64 v[1:2], v0
	s_andn2_b64 s[94:95], s[94:95], exec
	s_mov_b32 s34, 0
	s_waitcnt lgkmcnt(0)
	flat_load_dword v1, v[1:2] glc
	s_waitcnt vmcnt(0) lgkmcnt(0)
	buffer_wbinvl1_vol
	v_cmp_eq_u32_e32 vcc, 0, v1
	s_and_b64 vcc, vcc, exec
	s_or_b64 s[94:95], s[94:95], vcc
	s_mov_b64 vcc, -1
	s_or_b64 s[92:93], s[92:93], exec
	s_and_saveexec_b64 s[30:31], s[94:95]
	s_cbranch_execz .LBB6_88
.LBB6_92:                               ;   in Loop: Header=BB6_89 Depth=3
	s_sleep 1
	s_trap 2
	ds_read_b64 v[1:2], v0
	s_waitcnt lgkmcnt(0)
	s_andn2_b64 s[92:93], s[92:93], exec
	v_cmp_ge_u64_e32 vcc, v[1:2], v[56:57]
	s_orn2_b64 vcc, vcc, exec
	s_branch .LBB6_88
.LBB6_93:                               ;   in Loop: Header=BB6_57 Depth=2
	s_or_b64 exec, exec, s[88:89]
	s_and_saveexec_b64 s[88:89], s[90:91]
	s_xor_b64 s[88:89], exec, s[88:89]
	s_cbranch_execz .LBB6_95
; %bb.94:                               ;   in Loop: Header=BB6_57 Depth=2
	ds_write_b32 v0, v54
	s_trap 2
.LBB6_95:                               ;   in Loop: Header=BB6_57 Depth=2
	s_or_b64 exec, exec, s[78:79]
	;;#ASMSTART
	s_wakeup
	;;#ASMEND
.LBB6_96:                               ;   in Loop: Header=BB6_57 Depth=2
	s_or_b64 exec, exec, s[76:77]
.LBB6_97:                               ;   in Loop: Header=BB6_57 Depth=2
	s_andn2_saveexec_b64 s[74:75], s[74:75]
	s_cbranch_execz .LBB6_99
; %bb.98:                               ;   in Loop: Header=BB6_57 Depth=2
	s_waitcnt vmcnt(0) lgkmcnt(0)
	buffer_wbinvl1_vol
	s_barrier
.LBB6_99:                               ;   in Loop: Header=BB6_57 Depth=2
	s_or_b64 exec, exec, s[74:75]
.LBB6_100:                              ;   in Loop: Header=BB6_57 Depth=2
	s_or_b64 exec, exec, s[26:27]
	s_trap 2
	ds_read_b32 v1, v0
	v_and_b32_e32 v2, 0x4000, v45
	v_cmp_ne_u32_e32 vcc, 0, v2
	s_xor_b64 s[26:27], s[6:7], -1
	s_and_b64 s[74:75], s[26:27], vcc
	s_and_saveexec_b64 s[26:27], s[74:75]
	s_cbranch_execz .LBB6_119
; %bb.101:                              ;   in Loop: Header=BB6_57 Depth=2
	s_and_saveexec_b64 s[74:75], s[56:57]
	s_xor_b64 s[74:75], exec, s[74:75]
	s_cbranch_execz .LBB6_116
; %bb.102:                              ;   in Loop: Header=BB6_57 Depth=2
	s_and_saveexec_b64 s[76:77], s[16:17]
	s_cbranch_execz .LBB6_115
; %bb.103:                              ;   in Loop: Header=BB6_57 Depth=2
	s_mov_b64 s[88:89], exec
	v_mbcnt_lo_u32_b32 v2, s88, 0
	v_mbcnt_hi_u32_b32 v2, s89, v2
	v_cmp_eq_u32_e32 vcc, 0, v2
	s_waitcnt vmcnt(0) lgkmcnt(0)
	buffer_wbinvl1_vol
	s_and_saveexec_b64 s[78:79], vcc
	s_cbranch_execz .LBB6_105
; %bb.104:                              ;   in Loop: Header=BB6_57 Depth=2
	s_bcnt1_i32_b64 s88, s[88:89]
	v_mov_b32_e32 v2, s88
	v_mov_b32_e32 v3, v51
	ds_add_u64 v0, v[2:3]
	s_trap 2
.LBB6_105:                              ;   in Loop: Header=BB6_57 Depth=2
	s_or_b64 exec, exec, s[78:79]
	s_trap 2
	ds_read_b64 v[2:3], v0
	s_waitcnt lgkmcnt(0)
	v_add_co_u32_e32 v56, vcc, v56, v53
	v_addc_co_u32_e32 v57, vcc, 0, v57, vcc
	v_cmp_lt_u64_e32 vcc, v[2:3], v[56:57]
	s_and_saveexec_b64 s[78:79], vcc
	s_cbranch_execz .LBB6_114
; %bb.106:                              ;   in Loop: Header=BB6_57 Depth=2
	s_mov_b32 s34, 0
	s_mov_b64 s[88:89], 0
                                        ; implicit-def: $sgpr90_sgpr91
                                        ; implicit-def: $sgpr92_sgpr93
	s_branch .LBB6_108
.LBB6_107:                              ;   in Loop: Header=BB6_108 Depth=3
	s_or_b64 exec, exec, s[30:31]
	s_and_b64 s[94:95], exec, vcc
	s_or_b64 s[88:89], s[94:95], s[88:89]
	s_andn2_b64 s[90:91], s[90:91], exec
	s_and_b64 s[94:95], s[92:93], exec
	s_or_b64 s[90:91], s[90:91], s[94:95]
	s_andn2_b64 exec, exec, s[88:89]
	s_cbranch_execz .LBB6_112
.LBB6_108:                              ;   Parent Loop BB6_47 Depth=1
                                        ;     Parent Loop BB6_57 Depth=2
                                        ; =>    This Inner Loop Header: Depth=3
	s_add_i32 s34, s34, 1
	s_cmpk_lg_i32 s34, 0x2710
	s_cselect_b64 s[94:95], -1, 0
	s_and_b64 vcc, exec, s[94:95]
	s_cbranch_vccz .LBB6_110
; %bb.109:                              ;   in Loop: Header=BB6_108 Depth=3
	s_mov_b64 vcc, -1
	s_or_b64 s[92:93], s[92:93], exec
	s_and_saveexec_b64 s[30:31], s[94:95]
	s_cbranch_execz .LBB6_107
	s_branch .LBB6_111
.LBB6_110:                              ;   in Loop: Header=BB6_108 Depth=3
	s_trap 2
	ds_read_b64 v[2:3], v0
	s_andn2_b64 s[94:95], s[94:95], exec
	s_mov_b32 s34, 0
	s_waitcnt lgkmcnt(0)
	flat_load_dword v2, v[2:3] glc
	s_waitcnt vmcnt(0) lgkmcnt(0)
	buffer_wbinvl1_vol
	v_cmp_eq_u32_e32 vcc, 0, v2
	s_and_b64 vcc, vcc, exec
	s_or_b64 s[94:95], s[94:95], vcc
	s_mov_b64 vcc, -1
	s_or_b64 s[92:93], s[92:93], exec
	s_and_saveexec_b64 s[30:31], s[94:95]
	s_cbranch_execz .LBB6_107
.LBB6_111:                              ;   in Loop: Header=BB6_108 Depth=3
	s_sleep 1
	s_trap 2
	ds_read_b64 v[2:3], v0
	s_waitcnt lgkmcnt(0)
	s_andn2_b64 s[92:93], s[92:93], exec
	v_cmp_ge_u64_e32 vcc, v[2:3], v[56:57]
	s_orn2_b64 vcc, vcc, exec
	s_branch .LBB6_107
.LBB6_112:                              ;   in Loop: Header=BB6_57 Depth=2
	s_or_b64 exec, exec, s[88:89]
	s_and_saveexec_b64 s[88:89], s[90:91]
	s_xor_b64 s[88:89], exec, s[88:89]
	s_cbranch_execz .LBB6_114
; %bb.113:                              ;   in Loop: Header=BB6_57 Depth=2
	ds_write_b32 v0, v54
	s_trap 2
.LBB6_114:                              ;   in Loop: Header=BB6_57 Depth=2
	s_or_b64 exec, exec, s[78:79]
	;;#ASMSTART
	s_wakeup
	;;#ASMEND
.LBB6_115:                              ;   in Loop: Header=BB6_57 Depth=2
	s_or_b64 exec, exec, s[76:77]
.LBB6_116:                              ;   in Loop: Header=BB6_57 Depth=2
	s_andn2_saveexec_b64 s[74:75], s[74:75]
	s_cbranch_execz .LBB6_118
; %bb.117:                              ;   in Loop: Header=BB6_57 Depth=2
	s_waitcnt vmcnt(0) lgkmcnt(0)
	buffer_wbinvl1_vol
	s_barrier
.LBB6_118:                              ;   in Loop: Header=BB6_57 Depth=2
	s_or_b64 exec, exec, s[74:75]
.LBB6_119:                              ;   in Loop: Header=BB6_57 Depth=2
	s_or_b64 exec, exec, s[26:27]
	s_trap 2
	ds_read_b64 v[10:11], v0
	s_waitcnt lgkmcnt(0)
	v_cmp_eq_u64_e32 vcc, 0, v[10:11]
	s_cbranch_vccnz .LBB6_127
; %bb.120:                              ;   in Loop: Header=BB6_57 Depth=2
	s_trap 2
	ds_read_b64 v[12:13], v0
	s_waitcnt lgkmcnt(0)
	v_cmp_eq_u64_e32 vcc, 0, v[12:13]
	s_cbranch_vccnz .LBB6_127
; %bb.121:                              ;   in Loop: Header=BB6_57 Depth=2
	s_mov_b64 s[26:27], -1
	s_and_saveexec_b64 s[74:75], s[18:19]
	s_cbranch_execz .LBB6_123
; %bb.122:                              ;   in Loop: Header=BB6_57 Depth=2
	ds_read_b32 v2, v0 offset:720
	s_waitcnt lgkmcnt(0)
	v_and_b32_e32 v2, 15, v2
	v_cmp_eq_u32_e32 vcc, 0, v2
	s_orn2_b64 s[26:27], vcc, exec
.LBB6_123:                              ;   in Loop: Header=BB6_57 Depth=2
	s_or_b64 exec, exec, s[74:75]
	s_and_saveexec_b64 s[74:75], s[20:21]
	s_cbranch_execz .LBB6_125
; %bb.124:                              ;   in Loop: Header=BB6_57 Depth=2
	ds_read_b32 v2, v0 offset:784
	s_waitcnt lgkmcnt(0)
	v_and_b32_e32 v2, 15, v2
	v_cmp_eq_u32_e32 vcc, 0, v2
	s_and_b64 s[76:77], s[26:27], vcc
	s_andn2_b64 s[26:27], s[26:27], exec
	s_and_b64 s[76:77], s[76:77], exec
	s_or_b64 s[26:27], s[26:27], s[76:77]
.LBB6_125:                              ;   in Loop: Header=BB6_57 Depth=2
	s_or_b64 exec, exec, s[74:75]
	buffer_load_dword v5, off, s[0:3], s33 offset:148 ; 4-byte Folded Reload
	v_cmp_eq_u32_e32 vcc, 0, v1
	s_xor_b64 s[26:27], s[26:27], -1
	v_cndmask_b32_e32 v1, 0, v4, vcc
	v_cndmask_b32_e64 v2, 0, 1, s[26:27]
	s_mov_b64 s[76:77], -1
	v_cmp_ne_u32_e32 vcc, 0, v2
	v_mov_b32_e32 v2, 0
	v_mov_b32_e32 v3, v1
	s_cbranch_vccz .LBB6_133
; %bb.126:                              ;   in Loop: Header=BB6_57 Depth=2
	s_and_saveexec_b64 s[26:27], s[76:77]
	s_cbranch_execnz .LBB6_144
	s_branch .LBB6_152
.LBB6_127:                              ;   in Loop: Header=BB6_57 Depth=2
	s_mov_b64 s[26:27], 0
	s_and_saveexec_b64 s[74:75], s[10:11]
	s_cbranch_execnz .LBB6_153
.LBB6_128:                              ;   in Loop: Header=BB6_57 Depth=2
	s_or_b64 exec, exec, s[74:75]
                                        ; implicit-def: $vgpr1
	s_and_saveexec_b64 s[74:75], s[24:25]
	s_xor_b64 s[74:75], exec, s[74:75]
	s_cbranch_execz .LBB6_171
.LBB6_129:                              ;   in Loop: Header=BB6_57 Depth=2
	v_and_b32_e32 v2, 16, v45
	v_cmp_ne_u32_e32 vcc, 0, v2
	v_and_b32_e32 v1, 16, v45
	s_and_b64 s[76:77], vcc, s[26:27]
	s_and_saveexec_b64 s[26:27], s[76:77]
	s_cbranch_execz .LBB6_131
; %bb.130:                              ;   in Loop: Header=BB6_57 Depth=2
	v_mov_b32_e32 v1, 1
	s_waitcnt vmcnt(0) lgkmcnt(0)
	buffer_wbinvl1_vol
.LBB6_131:                              ;   in Loop: Header=BB6_57 Depth=2
	s_or_b64 exec, exec, s[26:27]
	s_andn2_saveexec_b64 s[26:27], s[74:75]
	s_cbranch_execnz .LBB6_172
.LBB6_132:                              ;   in Loop: Header=BB6_57 Depth=2
	s_or_b64 exec, exec, s[26:27]
	v_cmp_ne_u32_e32 vcc, 0, v1
	s_and_saveexec_b64 s[26:27], vcc
	s_cbranch_execz .LBB6_56
	s_branch .LBB6_190
.LBB6_133:                              ;   in Loop: Header=BB6_57 Depth=2
	buffer_load_dword v3, off, s[0:3], s33 offset:228 ; 4-byte Folded Reload
	v_ashrrev_i32_e32 v2, 31, v1
	v_lshrrev_b32_e32 v2, 19, v2
	v_add_u32_e32 v2, v1, v2
	v_ashrrev_i32_e32 v2, 13, v2
	v_mov_b32_e32 v59, v16
	v_mov_b32_e32 v58, v15
	s_waitcnt vmcnt(0)
	v_sub_u32_e32 v6, v2, v3
	v_cmp_lt_i32_e32 vcc, 0, v6
	s_and_saveexec_b64 s[74:75], vcc
	s_cbranch_execz .LBB6_137
; %bb.134:                              ;   in Loop: Header=BB6_57 Depth=2
	v_mov_b32_e32 v61, v38
	v_mov_b32_e32 v15, v13
	;; [unrolled: 1-line block ×5, first 2 shown]
	s_mov_b64 s[76:77], 0
	v_mov_b32_e32 v14, v12
	v_mov_b32_e32 v16, v10
	;; [unrolled: 1-line block ×4, first 2 shown]
.LBB6_135:                              ;   Parent Loop BB6_47 Depth=1
                                        ;     Parent Loop BB6_57 Depth=2
                                        ; =>    This Inner Loop Header: Depth=3
	s_waitcnt vmcnt(3)
	v_add_co_u32_e32 v34, vcc, v36, v16
	v_addc_co_u32_e32 v35, vcc, 0, v17, vcc
	v_add_co_u32_e32 v38, vcc, s53, v34
	v_addc_co_u32_e32 v39, vcc, 0, v35, vcc
	global_load_dwordx4 v[18:21], v[34:35], off glc slc
	global_load_dwordx4 v[22:25], v[34:35], off offset:1024 glc slc
	global_load_dwordx4 v[26:29], v[34:35], off offset:2048 glc slc
	;; [unrolled: 1-line block ×3, first 2 shown]
	s_nop 0
	global_load_dwordx4 v[34:37], v[38:39], off glc slc
	global_load_dwordx4 v[48:51], v[38:39], off offset:1024 glc slc
	global_load_dwordx4 v[52:55], v[38:39], off offset:2048 glc slc
	s_nop 0
	global_load_dwordx4 v[38:41], v[38:39], off offset:3072 glc slc
	v_sub_u32_e32 v6, v6, v5
	buffer_load_dword v42, off, s[0:3], s33 offset:116 ; 4-byte Folded Reload
	v_cmp_gt_i32_e64 s[26:27], 1, v6
	s_or_b64 s[76:77], s[26:27], s[76:77]
	s_waitcnt vmcnt(0)
	v_add_co_u32_e32 v42, vcc, v42, v14
	v_addc_co_u32_e32 v43, vcc, 0, v15, vcc
	v_add_co_u32_e32 v16, vcc, v16, v44
	v_addc_co_u32_e32 v17, vcc, 0, v17, vcc
	;; [unrolled: 2-line block ×4, first 2 shown]
	global_store_dwordx4 v[42:43], v[18:21], off glc slc
	global_store_dwordx4 v[42:43], v[22:25], off offset:1024 glc slc
	global_store_dwordx4 v[42:43], v[26:29], off offset:2048 glc slc
	;; [unrolled: 1-line block ×3, first 2 shown]
	global_store_dwordx4 v[46:47], v[34:37], off glc slc
	buffer_load_dword v36, off, s[0:3], s33 offset:116 ; 4-byte Folded Reload
	s_nop 0
	global_store_dwordx4 v[46:47], v[48:51], off offset:1024 glc slc
	global_store_dwordx4 v[46:47], v[52:55], off offset:2048 glc slc
	;; [unrolled: 1-line block ×3, first 2 shown]
	s_andn2_b64 exec, exec, s[76:77]
	s_cbranch_execnz .LBB6_135
; %bb.136:                              ;   in Loop: Header=BB6_57 Depth=2
	s_or_b64 exec, exec, s[76:77]
	buffer_load_dword v42, off, s[0:3], s33 offset:288 ; 4-byte Folded Reload
	buffer_load_dword v43, off, s[0:3], s33 offset:292 ; 4-byte Folded Reload
	;; [unrolled: 1-line block ×18, first 2 shown]
	v_mov_b32_e32 v37, v60
	v_mov_b32_e32 v38, v61
	;; [unrolled: 1-line block ×8, first 2 shown]
.LBB6_137:                              ;   in Loop: Header=BB6_57 Depth=2
	s_or_b64 exec, exec, s[74:75]
	v_lshlrev_b32_e32 v14, 13, v2
	v_cmp_ne_u32_e32 vcc, v1, v14
	s_mov_b64 s[76:77], 0
	v_mov_b32_e32 v2, 0
                                        ; implicit-def: $vgpr3
                                        ; implicit-def: $vgpr5
	s_and_saveexec_b64 s[74:75], vcc
	s_cbranch_execz .LBB6_143
; %bb.138:                              ;   in Loop: Header=BB6_57 Depth=2
	buffer_load_dword v5, off, s[0:3], s33 offset:340 ; 4-byte Folded Reload
	v_lshlrev_b32_e32 v2, 6, v6
	v_sub_u32_e32 v3, v1, v14
	s_waitcnt vmcnt(0)
	v_sub_u32_e32 v2, v5, v2
	v_ashrrev_i32_e32 v5, 31, v2
	v_lshrrev_b32_e32 v5, 26, v5
	v_add_u32_e32 v5, v2, v5
	v_ashrrev_i32_e32 v6, 6, v5
	v_and_b32_e32 v5, 0xffffffc0, v5
	v_sub_u32_e32 v5, v2, v5
	v_lshlrev_b32_e32 v2, 4, v5
	v_lshl_add_u32 v16, v6, 10, v2
	v_ashrrev_i32_e32 v2, 31, v3
	v_lshrrev_b32_e32 v2, 22, v2
	v_add_u32_e32 v2, v3, v2
	v_ashrrev_i32_e32 v17, 10, v2
	v_and_b32_e32 v2, 0xfffffc00, v2
	v_sub_u32_e32 v15, v3, v16
	v_sub_u32_e32 v3, v3, v2
	v_cmp_lt_i32_e32 vcc, 15, v3
	v_addc_co_u32_e64 v17, s[26:27], 0, v17, vcc
	v_sub_u32_e32 v6, v17, v6
	v_cmp_lt_i32_e64 s[26:27], 15, v15
	s_and_saveexec_b64 s[76:77], s[26:27]
	s_cbranch_execz .LBB6_142
; %bb.139:                              ;   in Loop: Header=BB6_57 Depth=2
	v_add_u32_e32 v16, v16, v14
	v_ashrrev_i32_e32 v17, 31, v16
	s_mov_b64 s[78:79], 0
.LBB6_140:                              ;   Parent Loop BB6_47 Depth=1
                                        ;     Parent Loop BB6_57 Depth=2
                                        ; =>    This Inner Loop Header: Depth=3
	v_add_co_u32_e64 v18, s[26:27], v10, v16
	v_addc_co_u32_e64 v19, s[26:27], v11, v17, s[26:27]
	global_load_dwordx4 v[18:21], v[18:19], off glc slc
	v_add_co_u32_e64 v22, s[26:27], v12, v16
	v_addc_co_u32_e64 v23, s[26:27], v13, v17, s[26:27]
	v_add_co_u32_e64 v16, s[26:27], v16, v32
	v_sub_u32_e32 v15, v15, v32
	v_addc_co_u32_e64 v17, s[26:27], 0, v17, s[26:27]
	v_cmp_gt_i32_e64 s[26:27], 16, v15
	v_sub_u32_e32 v6, v6, v53
	s_or_b64 s[78:79], s[26:27], s[78:79]
	s_waitcnt vmcnt(0)
	global_store_dwordx4 v[22:23], v[18:21], off glc slc
	s_andn2_b64 exec, exec, s[78:79]
	s_cbranch_execnz .LBB6_140
; %bb.141:                              ;   in Loop: Header=BB6_57 Depth=2
	s_or_b64 exec, exec, s[78:79]
	buffer_load_dword v20, off, s[0:3], s33 offset:252 ; 4-byte Folded Reload
	buffer_load_dword v21, off, s[0:3], s33 offset:256 ; 4-byte Folded Reload
	;; [unrolled: 1-line block ×4, first 2 shown]
.LBB6_142:                              ;   in Loop: Header=BB6_57 Depth=2
	s_or_b64 exec, exec, s[76:77]
	v_and_b32_e32 v15, 15, v1
	v_sub_u32_e32 v16, v3, v15
	v_cndmask_b32_e32 v16, 0, v16, vcc
	v_cndmask_b32_e32 v3, v3, v15, vcc
	v_cmp_lt_i32_e32 vcc, 0, v6
	v_add3_u32 v2, v2, v14, v16
	v_cndmask_b32_e32 v14, 0, v53, vcc
	v_sub_u32_e32 v6, v14, v6
	v_cmp_ne_u32_e32 vcc, 0, v3
	v_lshl_add_u32 v5, v6, 6, v5
	s_and_b64 s[76:77], vcc, exec
.LBB6_143:                              ;   in Loop: Header=BB6_57 Depth=2
	s_or_b64 exec, exec, s[74:75]
	v_mov_b32_e32 v15, v58
	v_mov_b32_e32 v16, v59
	s_and_saveexec_b64 s[26:27], s[76:77]
	s_cbranch_execz .LBB6_152
.LBB6_144:                              ;   in Loop: Header=BB6_57 Depth=2
	s_waitcnt vmcnt(0)
	v_ashrrev_i32_e32 v6, 31, v5
	v_ashrrev_i32_e32 v14, 31, v3
	v_mov_b32_e32 v59, v16
	v_lshrrev_b32_e32 v6, 26, v6
	v_lshrrev_b32_e32 v14, 21, v14
	v_mov_b32_e32 v58, v15
	v_add_u32_e32 v16, v5, v6
	v_add_u32_e32 v14, v3, v14
	v_ashrrev_i32_e32 v6, 6, v16
	v_ashrrev_i32_e32 v15, 11, v14
	v_sub_u32_e32 v14, v15, v6
	v_cmp_lt_i32_e32 vcc, 0, v14
	s_and_saveexec_b64 s[74:75], vcc
	s_cbranch_execz .LBB6_148
; %bb.145:                              ;   in Loop: Header=BB6_57 Depth=2
	v_and_b32_e32 v16, 0xffffffc0, v16
	v_sub_u32_e32 v16, v5, v16
	v_lshlrev_b32_e32 v17, 11, v6
	v_mov_b32_e32 v47, v38
	v_add3_u32 v16, v2, v16, v17
	v_mov_b32_e32 v44, v51
	v_mov_b32_e32 v46, v37
	v_ashrrev_i32_e32 v17, 31, v16
	s_mov_b64 s[76:77], 0
	v_mov_b32_e32 v60, v53
	v_mov_b32_e32 v61, v33
.LBB6_146:                              ;   Parent Loop BB6_47 Depth=1
                                        ;     Parent Loop BB6_57 Depth=2
                                        ; =>    This Inner Loop Header: Depth=3
	v_add_co_u32_e32 v18, vcc, v16, v10
	v_addc_co_u32_e32 v19, vcc, v17, v11, vcc
	flat_load_ubyte v20, v[18:19] glc slc
	flat_load_ubyte v21, v[18:19] offset:64 glc slc
	flat_load_ubyte v22, v[18:19] offset:128 glc slc
	;; [unrolled: 1-line block ×31, first 2 shown]
	v_add_co_u32_e32 v18, vcc, v16, v12
	v_addc_co_u32_e32 v19, vcc, v17, v13, vcc
	v_add_co_u32_e32 v10, vcc, v10, v61
	v_addc_co_u32_e32 v11, vcc, 0, v11, vcc
	v_add_co_u32_e32 v12, vcc, v12, v61
	v_sub_u32_e32 v14, v14, v60
	v_addc_co_u32_e32 v13, vcc, 0, v13, vcc
	v_cmp_gt_i32_e32 vcc, 1, v14
	s_or_b64 s[76:77], vcc, s[76:77]
	s_waitcnt vmcnt(0) lgkmcnt(0)
	flat_store_byte v[18:19], v20 glc slc
	flat_store_byte v[18:19], v21 offset:64 glc slc
	flat_store_byte v[18:19], v22 offset:128 glc slc
	;; [unrolled: 1-line block ×31, first 2 shown]
	s_andn2_b64 exec, exec, s[76:77]
	s_cbranch_execnz .LBB6_146
; %bb.147:                              ;   in Loop: Header=BB6_57 Depth=2
	s_or_b64 exec, exec, s[76:77]
	buffer_load_dword v42, off, s[0:3], s33 offset:288 ; 4-byte Folded Reload
	buffer_load_dword v43, off, s[0:3], s33 offset:292 ; 4-byte Folded Reload
	;; [unrolled: 1-line block ×19, first 2 shown]
	v_mov_b32_e32 v37, v46
	v_mov_b32_e32 v38, v47
	;; [unrolled: 1-line block ×8, first 2 shown]
.LBB6_148:                              ;   in Loop: Header=BB6_57 Depth=2
	s_or_b64 exec, exec, s[74:75]
	v_lshlrev_b32_e32 v10, 11, v15
	v_cmp_ne_u32_e32 vcc, v3, v10
	v_mov_b32_e32 v15, v58
	s_and_b64 s[74:75], exec, vcc
	v_mov_b32_e32 v16, v59
	s_mov_b64 exec, s[74:75]
	s_cbranch_execz .LBB6_152
; %bb.149:                              ;   in Loop: Header=BB6_57 Depth=2
	v_lshlrev_b32_e32 v6, 6, v6
	v_sub_u32_e32 v5, v5, v6
	v_lshlrev_b32_e32 v6, 6, v14
	v_sub_u32_e32 v5, v5, v6
	v_add_u32_e32 v5, v10, v5
	v_sub_u32_e32 v3, v3, v5
	v_cmp_lt_i32_e32 vcc, 0, v3
	s_and_b64 exec, exec, vcc
	s_cbranch_execz .LBB6_152
; %bb.150:                              ;   in Loop: Header=BB6_57 Depth=2
	s_trap 2
	ds_read_b64 v[10:11], v0
	v_add_u32_e32 v2, v5, v2
	v_ashrrev_i32_e32 v5, 31, v2
	s_mov_b64 s[74:75], 0
.LBB6_151:                              ;   Parent Loop BB6_47 Depth=1
                                        ;     Parent Loop BB6_57 Depth=2
                                        ; =>    This Inner Loop Header: Depth=3
	s_waitcnt lgkmcnt(0)
	v_add_co_u32_e32 v12, vcc, v10, v2
	v_addc_co_u32_e32 v13, vcc, v11, v5, vcc
	flat_load_ubyte v6, v[12:13] glc slc
	s_waitcnt vmcnt(0)
	v_add_co_u32_e32 v2, vcc, v2, v50
	v_sub_u32_e32 v3, v3, v50
	v_addc_co_u32_e32 v5, vcc, 0, v5, vcc
	v_cmp_gt_i32_e32 vcc, 1, v3
	s_or_b64 s[74:75], vcc, s[74:75]
	s_waitcnt lgkmcnt(0)
	flat_store_byte v[12:13], v6 glc slc
	s_andn2_b64 exec, exec, s[74:75]
	s_cbranch_execnz .LBB6_151
.LBB6_152:                              ;   in Loop: Header=BB6_57 Depth=2
	s_or_b64 exec, exec, s[26:27]
	v_cmp_lt_i32_e64 s[26:27], 0, v1
	s_and_saveexec_b64 s[74:75], s[10:11]
	s_cbranch_execz .LBB6_128
.LBB6_153:                              ;   in Loop: Header=BB6_57 Depth=2
	s_and_saveexec_b64 s[76:77], s[56:57]
	s_xor_b64 s[76:77], exec, s[76:77]
	s_cbranch_execz .LBB6_168
; %bb.154:                              ;   in Loop: Header=BB6_57 Depth=2
	s_and_saveexec_b64 s[78:79], s[16:17]
	s_cbranch_execz .LBB6_167
; %bb.155:                              ;   in Loop: Header=BB6_57 Depth=2
	s_mov_b64 s[90:91], exec
	v_mbcnt_lo_u32_b32 v1, s90, 0
	v_mbcnt_hi_u32_b32 v1, s91, v1
	v_cmp_eq_u32_e32 vcc, 0, v1
	s_waitcnt vmcnt(0) lgkmcnt(0)
	buffer_wbinvl1_vol
	s_and_saveexec_b64 s[88:89], vcc
	s_cbranch_execz .LBB6_157
; %bb.156:                              ;   in Loop: Header=BB6_57 Depth=2
	s_bcnt1_i32_b64 s90, s[90:91]
	v_mov_b32_e32 v1, s90
	v_mov_b32_e32 v2, v51
	ds_add_u64 v0, v[1:2]
	s_trap 2
.LBB6_157:                              ;   in Loop: Header=BB6_57 Depth=2
	s_or_b64 exec, exec, s[88:89]
	s_trap 2
	ds_read_b64 v[1:2], v0
	s_waitcnt lgkmcnt(0)
	v_add_co_u32_e32 v56, vcc, v56, v53
	v_addc_co_u32_e32 v57, vcc, 0, v57, vcc
	v_cmp_lt_u64_e32 vcc, v[1:2], v[56:57]
	s_and_saveexec_b64 s[88:89], vcc
	s_cbranch_execz .LBB6_166
; %bb.158:                              ;   in Loop: Header=BB6_57 Depth=2
	s_mov_b32 s36, 0
	s_mov_b64 s[90:91], 0
                                        ; implicit-def: $sgpr92_sgpr93
                                        ; implicit-def: $sgpr94_sgpr95
	s_branch .LBB6_160
.LBB6_159:                              ;   in Loop: Header=BB6_160 Depth=3
	s_or_b64 exec, exec, s[34:35]
	s_and_b64 vcc, exec, vcc
	s_or_b64 s[90:91], vcc, s[90:91]
	s_andn2_b64 s[92:93], s[92:93], exec
	s_and_b64 vcc, s[94:95], exec
	s_or_b64 s[92:93], s[92:93], vcc
	s_andn2_b64 exec, exec, s[90:91]
	s_cbranch_execz .LBB6_164
.LBB6_160:                              ;   Parent Loop BB6_47 Depth=1
                                        ;     Parent Loop BB6_57 Depth=2
                                        ; =>    This Inner Loop Header: Depth=3
	s_add_i32 s36, s36, 1
	s_cmpk_lg_i32 s36, 0x2710
	s_cselect_b64 s[30:31], -1, 0
	s_and_b64 vcc, exec, s[30:31]
	s_cbranch_vccz .LBB6_162
; %bb.161:                              ;   in Loop: Header=BB6_160 Depth=3
	s_mov_b64 vcc, -1
	s_or_b64 s[94:95], s[94:95], exec
	s_and_saveexec_b64 s[34:35], s[30:31]
	s_cbranch_execz .LBB6_159
	s_branch .LBB6_163
.LBB6_162:                              ;   in Loop: Header=BB6_160 Depth=3
	s_trap 2
	ds_read_b64 v[1:2], v0
	s_andn2_b64 s[30:31], s[30:31], exec
	s_mov_b32 s36, 0
	s_waitcnt lgkmcnt(0)
	flat_load_dword v1, v[1:2] glc
	s_waitcnt vmcnt(0) lgkmcnt(0)
	buffer_wbinvl1_vol
	v_cmp_eq_u32_e32 vcc, 0, v1
	s_and_b64 vcc, vcc, exec
	s_or_b64 s[30:31], s[30:31], vcc
	s_mov_b64 vcc, -1
	s_or_b64 s[94:95], s[94:95], exec
	s_and_saveexec_b64 s[34:35], s[30:31]
	s_cbranch_execz .LBB6_159
.LBB6_163:                              ;   in Loop: Header=BB6_160 Depth=3
	s_sleep 1
	s_trap 2
	ds_read_b64 v[1:2], v0
	s_waitcnt lgkmcnt(0)
	s_andn2_b64 s[94:95], s[94:95], exec
	v_cmp_ge_u64_e32 vcc, v[1:2], v[56:57]
	s_orn2_b64 vcc, vcc, exec
	s_branch .LBB6_159
.LBB6_164:                              ;   in Loop: Header=BB6_57 Depth=2
	s_or_b64 exec, exec, s[90:91]
	s_and_saveexec_b64 s[90:91], s[92:93]
	s_xor_b64 s[90:91], exec, s[90:91]
	s_cbranch_execz .LBB6_166
; %bb.165:                              ;   in Loop: Header=BB6_57 Depth=2
	ds_write_b32 v0, v54
	s_trap 2
.LBB6_166:                              ;   in Loop: Header=BB6_57 Depth=2
	s_or_b64 exec, exec, s[88:89]
	;;#ASMSTART
	s_wakeup
	;;#ASMEND
.LBB6_167:                              ;   in Loop: Header=BB6_57 Depth=2
	s_or_b64 exec, exec, s[78:79]
.LBB6_168:                              ;   in Loop: Header=BB6_57 Depth=2
	s_andn2_saveexec_b64 s[76:77], s[76:77]
	s_cbranch_execz .LBB6_170
; %bb.169:                              ;   in Loop: Header=BB6_57 Depth=2
	s_waitcnt vmcnt(0) lgkmcnt(0)
	buffer_wbinvl1_vol
	s_barrier
.LBB6_170:                              ;   in Loop: Header=BB6_57 Depth=2
	s_or_b64 exec, exec, s[76:77]
	s_or_b64 exec, exec, s[74:75]
                                        ; implicit-def: $vgpr1
	s_and_saveexec_b64 s[74:75], s[24:25]
	s_xor_b64 s[74:75], exec, s[74:75]
	s_cbranch_execnz .LBB6_129
.LBB6_171:                              ;   in Loop: Header=BB6_57 Depth=2
	s_andn2_saveexec_b64 s[26:27], s[74:75]
	s_cbranch_execz .LBB6_132
.LBB6_172:                              ;   in Loop: Header=BB6_57 Depth=2
	s_and_saveexec_b64 s[74:75], s[56:57]
	s_xor_b64 s[74:75], exec, s[74:75]
	s_cbranch_execz .LBB6_187
; %bb.173:                              ;   in Loop: Header=BB6_57 Depth=2
	s_and_saveexec_b64 s[76:77], s[16:17]
	s_cbranch_execz .LBB6_186
; %bb.174:                              ;   in Loop: Header=BB6_57 Depth=2
	s_mov_b64 s[88:89], exec
	v_mbcnt_lo_u32_b32 v1, s88, 0
	v_mbcnt_hi_u32_b32 v1, s89, v1
	v_cmp_eq_u32_e32 vcc, 0, v1
	;;#ASMSTART
	s_waitcnt lgkmcnt(0) vmcnt(0)
	;;#ASMEND
	s_and_saveexec_b64 s[78:79], vcc
	s_cbranch_execz .LBB6_176
; %bb.175:                              ;   in Loop: Header=BB6_57 Depth=2
	s_bcnt1_i32_b64 s88, s[88:89]
	v_mov_b32_e32 v1, s88
	v_mov_b32_e32 v2, v51
	s_waitcnt lgkmcnt(0)
	ds_add_u64 v0, v[1:2]
	s_trap 2
.LBB6_176:                              ;   in Loop: Header=BB6_57 Depth=2
	s_or_b64 exec, exec, s[78:79]
	s_trap 2
	ds_read_b64 v[1:2], v0
	s_waitcnt lgkmcnt(0)
	v_add_co_u32_e32 v56, vcc, v56, v53
	v_addc_co_u32_e32 v57, vcc, 0, v57, vcc
	v_cmp_lt_u64_e32 vcc, v[1:2], v[56:57]
	s_and_saveexec_b64 s[78:79], vcc
	s_cbranch_execz .LBB6_185
; %bb.177:                              ;   in Loop: Header=BB6_57 Depth=2
	s_mov_b32 s34, 0
	s_mov_b64 s[88:89], 0
                                        ; implicit-def: $sgpr90_sgpr91
                                        ; implicit-def: $sgpr92_sgpr93
	s_branch .LBB6_179
.LBB6_178:                              ;   in Loop: Header=BB6_179 Depth=3
	s_or_b64 exec, exec, s[30:31]
	s_and_b64 s[94:95], exec, vcc
	s_or_b64 s[88:89], s[94:95], s[88:89]
	s_andn2_b64 s[90:91], s[90:91], exec
	s_and_b64 s[94:95], s[92:93], exec
	s_or_b64 s[90:91], s[90:91], s[94:95]
	s_andn2_b64 exec, exec, s[88:89]
	s_cbranch_execz .LBB6_183
.LBB6_179:                              ;   Parent Loop BB6_47 Depth=1
                                        ;     Parent Loop BB6_57 Depth=2
                                        ; =>    This Inner Loop Header: Depth=3
	s_add_i32 s34, s34, 1
	s_cmpk_lg_i32 s34, 0x2710
	s_cselect_b64 s[94:95], -1, 0
	s_and_b64 vcc, exec, s[94:95]
	s_cbranch_vccz .LBB6_181
; %bb.180:                              ;   in Loop: Header=BB6_179 Depth=3
	s_mov_b64 vcc, -1
	s_or_b64 s[92:93], s[92:93], exec
	s_and_saveexec_b64 s[30:31], s[94:95]
	s_cbranch_execz .LBB6_178
	s_branch .LBB6_182
.LBB6_181:                              ;   in Loop: Header=BB6_179 Depth=3
	s_trap 2
	ds_read_b64 v[1:2], v0
	s_andn2_b64 s[94:95], s[94:95], exec
	s_mov_b32 s34, 0
	s_waitcnt vmcnt(0) lgkmcnt(0)
	flat_load_dword v1, v[1:2] glc
	s_waitcnt vmcnt(0) lgkmcnt(0)
	buffer_wbinvl1_vol
	v_cmp_eq_u32_e32 vcc, 0, v1
	s_and_b64 vcc, vcc, exec
	s_or_b64 s[94:95], s[94:95], vcc
	s_mov_b64 vcc, -1
	s_or_b64 s[92:93], s[92:93], exec
	s_and_saveexec_b64 s[30:31], s[94:95]
	s_cbranch_execz .LBB6_178
.LBB6_182:                              ;   in Loop: Header=BB6_179 Depth=3
	s_sleep 1
	s_trap 2
	ds_read_b64 v[1:2], v0
	s_waitcnt lgkmcnt(0)
	s_andn2_b64 s[92:93], s[92:93], exec
	v_cmp_ge_u64_e32 vcc, v[1:2], v[56:57]
	s_orn2_b64 vcc, vcc, exec
	s_branch .LBB6_178
.LBB6_183:                              ;   in Loop: Header=BB6_57 Depth=2
	s_or_b64 exec, exec, s[88:89]
	s_and_saveexec_b64 s[88:89], s[90:91]
	s_xor_b64 s[88:89], exec, s[88:89]
	s_cbranch_execz .LBB6_185
; %bb.184:                              ;   in Loop: Header=BB6_57 Depth=2
	ds_write_b32 v0, v54
	s_trap 2
.LBB6_185:                              ;   in Loop: Header=BB6_57 Depth=2
	s_or_b64 exec, exec, s[78:79]
	;;#ASMSTART
	s_wakeup
	;;#ASMEND
.LBB6_186:                              ;   in Loop: Header=BB6_57 Depth=2
	s_or_b64 exec, exec, s[76:77]
.LBB6_187:                              ;   in Loop: Header=BB6_57 Depth=2
	s_andn2_saveexec_b64 s[74:75], s[74:75]
	s_cbranch_execz .LBB6_189
; %bb.188:                              ;   in Loop: Header=BB6_57 Depth=2
	;;#ASMSTART
	s_waitcnt lgkmcnt(0) vmcnt(0)
	;;#ASMEND
	s_waitcnt vmcnt(0) lgkmcnt(0)
	s_barrier
.LBB6_189:                              ;   in Loop: Header=BB6_57 Depth=2
	s_or_b64 exec, exec, s[74:75]
	v_and_b32_e32 v1, 16, v45
	s_or_b64 exec, exec, s[26:27]
	v_cmp_ne_u32_e32 vcc, 0, v1
	s_and_saveexec_b64 s[26:27], vcc
	s_cbranch_execz .LBB6_56
.LBB6_190:                              ;   in Loop: Header=BB6_57 Depth=2
	s_mov_b64 s[74:75], exec
	v_readlane_b32 s76, v62, 8
	v_readlane_b32 s77, v62, 9
	s_and_b64 s[76:77], s[74:75], s[76:77]
	s_mov_b64 exec, s[76:77]
	s_cbranch_execz .LBB6_55
; %bb.191:                              ;   in Loop: Header=BB6_57 Depth=2
	s_waitcnt vmcnt(0)
	flat_store_dword v[40:41], v54
	s_branch .LBB6_55
.LBB6_192:                              ;   in Loop: Header=BB6_47 Depth=1
	s_or_b64 exec, exec, s[40:41]
.LBB6_193:                              ;   in Loop: Header=BB6_47 Depth=1
	s_or_b64 exec, exec, s[28:29]
	v_cmp_gt_i32_e32 vcc, 2, v1
	s_and_saveexec_b64 s[28:29], vcc
	s_cbranch_execz .LBB6_265
; %bb.194:                              ;   in Loop: Header=BB6_47 Depth=1
	v_cmp_eq_u32_e64 s[42:43], 0, v1
	s_mov_b64 s[40:41], 0
	s_branch .LBB6_197
.LBB6_195:                              ;   in Loop: Header=BB6_197 Depth=2
	s_or_b64 exec, exec, s[42:43]
	v_add_co_u32_e32 v15, vcc, 2, v15
	v_addc_co_u32_e32 v16, vcc, 0, v16, vcc
	s_waitcnt vmcnt(0)
	flat_store_dwordx2 v[42:43], v[15:16]
.LBB6_196:                              ;   in Loop: Header=BB6_197 Depth=2
	s_or_b64 exec, exec, s[26:27]
	v_add_u32_e32 v7, v4, v7
	s_mov_b64 s[42:43], 0
	s_andn2_b64 exec, exec, s[40:41]
	s_cbranch_execz .LBB6_264
.LBB6_197:                              ;   Parent Loop BB6_47 Depth=1
                                        ; =>  This Loop Header: Depth=2
                                        ;       Child Loop BB6_203 Depth 3
                                        ;       Child Loop BB6_227 Depth 3
	;; [unrolled: 1-line block ×3, first 2 shown]
	v_sub_u32_e32 v1, v0, v7
	v_min_i32_e32 v4, v4, v1
	v_and_b32_e32 v1, 8, v45
	v_cmp_ne_u32_e32 vcc, 0, v1
	s_and_saveexec_b64 s[74:75], vcc
	s_cbranch_execz .LBB6_219
; %bb.198:                              ;   in Loop: Header=BB6_197 Depth=2
	s_waitcnt vmcnt(0) lgkmcnt(0)
	v_add_co_u32_e32 v1, vcc, 8, v37
	v_addc_co_u32_e32 v2, vcc, 0, v38, vcc
	v_add_co_u32_e32 v8, vcc, 2, v15
	v_addc_co_u32_e32 v9, vcc, 0, v16, vcc
	v_cmp_lt_u64_e32 vcc, v[1:2], v[8:9]
	s_and_saveexec_b64 s[76:77], vcc
	s_cbranch_execz .LBB6_210
; %bb.199:                              ;   in Loop: Header=BB6_197 Depth=2
	v_and_b32_e32 v1, 64, v45
	s_mov_b32 s48, 0
	v_cmp_eq_u32_e32 vcc, 0, v1
	s_mov_b64 s[78:79], 0
                                        ; implicit-def: $sgpr88_sgpr89
                                        ; implicit-def: $sgpr90_sgpr91
                                        ; implicit-def: $sgpr92_sgpr93
	s_branch .LBB6_203
.LBB6_200:                              ;   in Loop: Header=BB6_203 Depth=3
	s_waitcnt vmcnt(0) lgkmcnt(0)
	v_add_co_u32_e64 v2, s[26:27], 8, v37
	v_addc_co_u32_e64 v3, s[26:27], 0, v38, s[26:27]
	v_cmp_ge_u64_e64 s[26:27], v[2:3], v[8:9]
	s_or_b64 s[34:35], s[34:35], exec
	s_orn2_b64 s[30:31], s[26:27], exec
.LBB6_201:                              ;   in Loop: Header=BB6_203 Depth=3
	s_or_b64 exec, exec, s[38:39]
	s_andn2_b64 s[26:27], s[92:93], exec
	s_and_b64 s[92:93], s[34:35], exec
	s_or_b64 s[92:93], s[26:27], s[92:93]
	s_andn2_b64 s[26:27], s[90:91], exec
	s_and_b64 s[90:91], s[30:31], exec
	s_or_b64 s[90:91], s[26:27], s[90:91]
.LBB6_202:                              ;   in Loop: Header=BB6_203 Depth=3
	s_or_b64 exec, exec, s[94:95]
	s_and_b64 s[26:27], exec, s[90:91]
	s_or_b64 s[78:79], s[26:27], s[78:79]
	s_andn2_b64 s[26:27], s[88:89], exec
	s_and_b64 s[88:89], s[92:93], exec
	s_or_b64 s[88:89], s[26:27], s[88:89]
	s_andn2_b64 exec, exec, s[78:79]
	s_cbranch_execz .LBB6_207
.LBB6_203:                              ;   Parent Loop BB6_47 Depth=1
                                        ;     Parent Loop BB6_197 Depth=2
                                        ; =>    This Inner Loop Header: Depth=3
	s_sleep 1
	s_waitcnt vmcnt(0) lgkmcnt(0)
	flat_load_dwordx2 v[37:38], v[42:43] glc
	s_or_b64 s[92:93], s[92:93], exec
	s_or_b64 s[90:91], s[90:91], exec
                                        ; implicit-def: $vgpr1
	s_and_saveexec_b64 s[94:95], vcc
	s_cbranch_execz .LBB6_202
; %bb.204:                              ;   in Loop: Header=BB6_203 Depth=3
	s_cmpk_lt_i32 s48, 0x270f
	s_cselect_b64 s[36:37], -1, 0
	s_cmpk_gt_i32 s48, 0x270e
	s_mov_b64 s[30:31], -1
	s_cbranch_scc0 .LBB6_206
; %bb.205:                              ;   in Loop: Header=BB6_203 Depth=3
	s_trap 2
	ds_read_b64 v[1:2], v0
	s_andn2_b64 s[36:37], s[36:37], exec
	s_mov_b32 s48, 0
	s_mov_b64 s[34:35], 0
	s_waitcnt vmcnt(0) lgkmcnt(0)
	flat_load_dword v1, v[1:2] glc
	s_waitcnt vmcnt(0) lgkmcnt(0)
	buffer_wbinvl1_vol
	v_cmp_eq_u32_e64 s[26:27], 0, v1
	s_and_b64 s[26:27], s[26:27], exec
	s_or_b64 s[36:37], s[36:37], s[26:27]
	s_and_saveexec_b64 s[38:39], s[36:37]
	s_cbranch_execz .LBB6_201
	s_branch .LBB6_200
.LBB6_206:                              ;   in Loop: Header=BB6_203 Depth=3
	s_add_i32 s48, s48, 1
	s_mov_b64 s[34:35], -1
                                        ; implicit-def: $vgpr1
	s_and_saveexec_b64 s[38:39], s[36:37]
	s_cbranch_execz .LBB6_201
	s_branch .LBB6_200
.LBB6_207:                              ;   in Loop: Header=BB6_197 Depth=2
	s_or_b64 exec, exec, s[78:79]
	s_xor_b64 s[26:27], s[88:89], -1
	s_and_saveexec_b64 s[78:79], s[26:27]
	s_xor_b64 s[26:27], exec, s[78:79]
	s_cbranch_execz .LBB6_209
; %bb.208:                              ;   in Loop: Header=BB6_197 Depth=2
	v_or_b32_e32 v45, 64, v45
	s_waitcnt lgkmcnt(0)
	ds_write_b32 v0, v1
	s_trap 2
.LBB6_209:                              ;   in Loop: Header=BB6_197 Depth=2
	s_or_b64 exec, exec, s[26:27]
.LBB6_210:                              ;   in Loop: Header=BB6_197 Depth=2
	s_or_b64 exec, exec, s[76:77]
	v_and_b32_e32 v1, 0x100, v45
	v_cmp_ne_u32_e32 vcc, 0, v1
	v_and_b32_e32 v1, 7, v15
	s_mov_b64 s[26:27], -1
	;;#ASMSTART
	s_wakeup
	;;#ASMEND
                                        ; implicit-def: $vgpr10_vgpr11
	s_and_saveexec_b64 s[76:77], vcc
	s_cbranch_execz .LBB6_214
; %bb.211:                              ;   in Loop: Header=BB6_197 Depth=2
	buffer_load_dword v10, off, s[0:3], s33 offset:120 ; 4-byte Folded Reload
	buffer_load_dword v11, off, s[0:3], s33 offset:124 ; 4-byte Folded Reload
	;; [unrolled: 1-line block ×4, first 2 shown]
	v_ashrrev_i32_e32 v5, 31, v4
	s_waitcnt vmcnt(0)
	v_mad_u64_u32 v[12:13], s[26:27], v1, 24, v[10:11]
                                        ; implicit-def: $vgpr10_vgpr11
	flat_load_dword v2, v[12:13]
	s_nop 0
	flat_store_dwordx2 v[12:13], v[4:5] offset:8
	s_waitcnt vmcnt(0) lgkmcnt(0)
	v_cmp_ne_u32_e32 vcc, 1, v2
	v_cmp_eq_u32_e64 s[26:27], 1, v2
	s_and_saveexec_b64 s[78:79], s[26:27]
	s_cbranch_execz .LBB6_213
; %bb.212:                              ;   in Loop: Header=BB6_197 Depth=2
	flat_load_dword v10, v[12:13] offset:4 glc
	s_waitcnt vmcnt(0) lgkmcnt(0)
	v_ashrrev_i32_e32 v11, 31, v10
.LBB6_213:                              ;   in Loop: Header=BB6_197 Depth=2
	s_or_b64 exec, exec, s[78:79]
	s_orn2_b64 s[26:27], vcc, exec
.LBB6_214:                              ;   in Loop: Header=BB6_197 Depth=2
	s_or_b64 exec, exec, s[76:77]
	s_and_saveexec_b64 s[76:77], s[26:27]
	s_cbranch_execz .LBB6_216
; %bb.215:                              ;   in Loop: Header=BB6_197 Depth=2
	buffer_load_dword v2, off, s[0:3], s33 offset:144 ; 4-byte Folded Reload
	s_waitcnt vmcnt(0)
	v_mad_i64_i32 v[10:11], s[26:27], v1, v2, 0
.LBB6_216:                              ;   in Loop: Header=BB6_197 Depth=2
	s_or_b64 exec, exec, s[76:77]
	v_add_co_u32_e32 v1, vcc, v48, v10
	v_addc_co_u32_e32 v2, vcc, v49, v11, vcc
	ds_write_b64 v0, v[1:2] offset:784
	v_and_b32_e32 v1, 0x2000, v45
	v_cmp_ne_u32_e32 vcc, 0, v1
	s_and_saveexec_b64 s[26:27], vcc
	s_cbranch_execz .LBB6_218
; %bb.217:                              ;   in Loop: Header=BB6_197 Depth=2
	ds_read_b64 v[1:2], v0 offset:872
	s_waitcnt lgkmcnt(0)
	v_add_co_u32_e32 v1, vcc, 1, v1
	v_addc_co_u32_e32 v2, vcc, 0, v2, vcc
	ds_write_b64 v0, v[1:2] offset:872
.LBB6_218:                              ;   in Loop: Header=BB6_197 Depth=2
	s_or_b64 exec, exec, s[26:27]
	v_mov_b32_e32 v16, v9
	v_mov_b32_e32 v15, v8
.LBB6_219:                              ;   in Loop: Header=BB6_197 Depth=2
	s_or_b64 exec, exec, s[74:75]
	s_xor_b64 s[26:27], s[42:43], -1
	s_and_b64 s[26:27], exec, s[26:27]
	s_or_b64 s[40:41], s[26:27], s[40:41]
	s_and_saveexec_b64 s[26:27], s[10:11]
	s_cbranch_execz .LBB6_238
; %bb.220:                              ;   in Loop: Header=BB6_197 Depth=2
	s_and_saveexec_b64 s[42:43], s[56:57]
	s_xor_b64 s[42:43], exec, s[42:43]
	s_cbranch_execz .LBB6_235
; %bb.221:                              ;   in Loop: Header=BB6_197 Depth=2
	s_and_saveexec_b64 s[74:75], s[16:17]
	s_cbranch_execz .LBB6_234
; %bb.222:                              ;   in Loop: Header=BB6_197 Depth=2
	s_mov_b64 s[78:79], exec
	v_mbcnt_lo_u32_b32 v1, s78, 0
	v_mbcnt_hi_u32_b32 v1, s79, v1
	v_cmp_eq_u32_e32 vcc, 0, v1
	s_waitcnt vmcnt(0) lgkmcnt(0)
	buffer_wbinvl1_vol
	s_and_saveexec_b64 s[76:77], vcc
	s_cbranch_execz .LBB6_224
; %bb.223:                              ;   in Loop: Header=BB6_197 Depth=2
	s_bcnt1_i32_b64 s78, s[78:79]
	v_mov_b32_e32 v1, s78
	v_mov_b32_e32 v2, v51
	ds_add_u64 v0, v[1:2]
	s_trap 2
.LBB6_224:                              ;   in Loop: Header=BB6_197 Depth=2
	s_or_b64 exec, exec, s[76:77]
	s_trap 2
	ds_read_b64 v[1:2], v0
	s_waitcnt lgkmcnt(0)
	v_add_co_u32_e32 v56, vcc, v56, v53
	v_addc_co_u32_e32 v57, vcc, 0, v57, vcc
	v_cmp_lt_u64_e32 vcc, v[1:2], v[56:57]
	s_and_saveexec_b64 s[76:77], vcc
	s_cbranch_execz .LBB6_233
; %bb.225:                              ;   in Loop: Header=BB6_197 Depth=2
	s_mov_b32 s30, 0
	s_mov_b64 s[78:79], 0
                                        ; implicit-def: $sgpr88_sgpr89
                                        ; implicit-def: $sgpr90_sgpr91
	s_branch .LBB6_227
.LBB6_226:                              ;   in Loop: Header=BB6_227 Depth=3
	s_or_b64 exec, exec, s[94:95]
	s_and_b64 s[92:93], exec, vcc
	s_or_b64 s[78:79], s[92:93], s[78:79]
	s_andn2_b64 s[88:89], s[88:89], exec
	s_and_b64 s[92:93], s[90:91], exec
	s_or_b64 s[88:89], s[88:89], s[92:93]
	s_andn2_b64 exec, exec, s[78:79]
	s_cbranch_execz .LBB6_231
.LBB6_227:                              ;   Parent Loop BB6_47 Depth=1
                                        ;     Parent Loop BB6_197 Depth=2
                                        ; =>    This Inner Loop Header: Depth=3
	s_add_i32 s30, s30, 1
	s_cmpk_lg_i32 s30, 0x2710
	s_cselect_b64 s[92:93], -1, 0
	s_and_b64 vcc, exec, s[92:93]
	s_cbranch_vccz .LBB6_229
; %bb.228:                              ;   in Loop: Header=BB6_227 Depth=3
	s_mov_b64 vcc, -1
	s_or_b64 s[90:91], s[90:91], exec
	s_and_saveexec_b64 s[94:95], s[92:93]
	s_cbranch_execz .LBB6_226
	s_branch .LBB6_230
.LBB6_229:                              ;   in Loop: Header=BB6_227 Depth=3
	s_trap 2
	ds_read_b64 v[1:2], v0
	s_andn2_b64 s[92:93], s[92:93], exec
	s_mov_b32 s30, 0
	s_waitcnt lgkmcnt(0)
	flat_load_dword v1, v[1:2] glc
	s_waitcnt vmcnt(0) lgkmcnt(0)
	buffer_wbinvl1_vol
	v_cmp_eq_u32_e32 vcc, 0, v1
	s_and_b64 s[94:95], vcc, exec
	s_or_b64 s[92:93], s[92:93], s[94:95]
	s_mov_b64 vcc, -1
	s_or_b64 s[90:91], s[90:91], exec
	s_and_saveexec_b64 s[94:95], s[92:93]
	s_cbranch_execz .LBB6_226
.LBB6_230:                              ;   in Loop: Header=BB6_227 Depth=3
	s_sleep 1
	s_trap 2
	ds_read_b64 v[1:2], v0
	s_waitcnt lgkmcnt(0)
	s_andn2_b64 s[90:91], s[90:91], exec
	v_cmp_ge_u64_e32 vcc, v[1:2], v[56:57]
	s_orn2_b64 vcc, vcc, exec
	s_branch .LBB6_226
.LBB6_231:                              ;   in Loop: Header=BB6_197 Depth=2
	s_or_b64 exec, exec, s[78:79]
	s_and_saveexec_b64 s[78:79], s[88:89]
	s_xor_b64 s[78:79], exec, s[78:79]
	s_cbranch_execz .LBB6_233
; %bb.232:                              ;   in Loop: Header=BB6_197 Depth=2
	ds_write_b32 v0, v54
	s_trap 2
.LBB6_233:                              ;   in Loop: Header=BB6_197 Depth=2
	s_or_b64 exec, exec, s[76:77]
	;;#ASMSTART
	s_wakeup
	;;#ASMEND
.LBB6_234:                              ;   in Loop: Header=BB6_197 Depth=2
	s_or_b64 exec, exec, s[74:75]
.LBB6_235:                              ;   in Loop: Header=BB6_197 Depth=2
	s_andn2_saveexec_b64 s[42:43], s[42:43]
	s_cbranch_execz .LBB6_237
; %bb.236:                              ;   in Loop: Header=BB6_197 Depth=2
	s_waitcnt vmcnt(0) lgkmcnt(0)
	buffer_wbinvl1_vol
	s_barrier
.LBB6_237:                              ;   in Loop: Header=BB6_197 Depth=2
	s_or_b64 exec, exec, s[42:43]
.LBB6_238:                              ;   in Loop: Header=BB6_197 Depth=2
	s_or_b64 exec, exec, s[26:27]
                                        ; implicit-def: $vgpr1
	s_and_saveexec_b64 s[26:27], s[24:25]
	s_xor_b64 s[26:27], exec, s[26:27]
	s_cbranch_execz .LBB6_243
; %bb.239:                              ;   in Loop: Header=BB6_197 Depth=2
	s_trap 2
	ds_read_b32 v1, v0
	v_cmp_lt_i32_e32 vcc, 0, v4
	v_and_b32_e32 v2, 16, v45
	s_waitcnt lgkmcnt(0)
	v_readfirstlane_b32 s42, v1
	s_cmp_eq_u32 s42, 0
	s_cselect_b64 s[42:43], -1, 0
	s_and_b64 s[42:43], vcc, s[42:43]
	v_cmp_ne_u32_e32 vcc, 0, v2
	v_and_b32_e32 v1, 16, v45
	s_and_b64 s[74:75], vcc, s[42:43]
	s_and_saveexec_b64 s[42:43], s[74:75]
	s_cbranch_execz .LBB6_241
; %bb.240:                              ;   in Loop: Header=BB6_197 Depth=2
	v_mov_b32_e32 v1, 1
	s_waitcnt vmcnt(0)
	buffer_wbinvl1_vol
.LBB6_241:                              ;   in Loop: Header=BB6_197 Depth=2
	s_or_b64 exec, exec, s[42:43]
	s_andn2_saveexec_b64 s[26:27], s[26:27]
	s_cbranch_execnz .LBB6_244
.LBB6_242:                              ;   in Loop: Header=BB6_197 Depth=2
	s_or_b64 exec, exec, s[26:27]
	v_cmp_ne_u32_e32 vcc, 0, v1
	s_and_saveexec_b64 s[26:27], vcc
	s_cbranch_execz .LBB6_196
	s_branch .LBB6_262
.LBB6_243:                              ;   in Loop: Header=BB6_197 Depth=2
	s_andn2_saveexec_b64 s[26:27], s[26:27]
	s_cbranch_execz .LBB6_242
.LBB6_244:                              ;   in Loop: Header=BB6_197 Depth=2
	s_and_saveexec_b64 s[42:43], s[56:57]
	s_xor_b64 s[42:43], exec, s[42:43]
	s_cbranch_execz .LBB6_259
; %bb.245:                              ;   in Loop: Header=BB6_197 Depth=2
	s_and_saveexec_b64 s[74:75], s[16:17]
	s_cbranch_execz .LBB6_258
; %bb.246:                              ;   in Loop: Header=BB6_197 Depth=2
	s_mov_b64 s[78:79], exec
	v_mbcnt_lo_u32_b32 v1, s78, 0
	v_mbcnt_hi_u32_b32 v1, s79, v1
	v_cmp_eq_u32_e32 vcc, 0, v1
	;;#ASMSTART
	s_waitcnt lgkmcnt(0) vmcnt(0)
	;;#ASMEND
	s_and_saveexec_b64 s[76:77], vcc
	s_cbranch_execz .LBB6_248
; %bb.247:                              ;   in Loop: Header=BB6_197 Depth=2
	s_bcnt1_i32_b64 s78, s[78:79]
	v_mov_b32_e32 v1, s78
	v_mov_b32_e32 v2, v51
	s_waitcnt lgkmcnt(0)
	ds_add_u64 v0, v[1:2]
	s_trap 2
.LBB6_248:                              ;   in Loop: Header=BB6_197 Depth=2
	s_or_b64 exec, exec, s[76:77]
	s_trap 2
	ds_read_b64 v[1:2], v0
	s_waitcnt lgkmcnt(0)
	v_add_co_u32_e32 v56, vcc, v56, v53
	v_addc_co_u32_e32 v57, vcc, 0, v57, vcc
	v_cmp_lt_u64_e32 vcc, v[1:2], v[56:57]
	s_and_saveexec_b64 s[76:77], vcc
	s_cbranch_execz .LBB6_257
; %bb.249:                              ;   in Loop: Header=BB6_197 Depth=2
	s_mov_b32 s30, 0
	s_mov_b64 s[78:79], 0
                                        ; implicit-def: $sgpr88_sgpr89
                                        ; implicit-def: $sgpr90_sgpr91
	s_branch .LBB6_251
.LBB6_250:                              ;   in Loop: Header=BB6_251 Depth=3
	s_or_b64 exec, exec, s[94:95]
	s_and_b64 s[92:93], exec, vcc
	s_or_b64 s[78:79], s[92:93], s[78:79]
	s_andn2_b64 s[88:89], s[88:89], exec
	s_and_b64 s[92:93], s[90:91], exec
	s_or_b64 s[88:89], s[88:89], s[92:93]
	s_andn2_b64 exec, exec, s[78:79]
	s_cbranch_execz .LBB6_255
.LBB6_251:                              ;   Parent Loop BB6_47 Depth=1
                                        ;     Parent Loop BB6_197 Depth=2
                                        ; =>    This Inner Loop Header: Depth=3
	s_add_i32 s30, s30, 1
	s_cmpk_lg_i32 s30, 0x2710
	s_cselect_b64 s[92:93], -1, 0
	s_and_b64 vcc, exec, s[92:93]
	s_cbranch_vccz .LBB6_253
; %bb.252:                              ;   in Loop: Header=BB6_251 Depth=3
	s_mov_b64 vcc, -1
	s_or_b64 s[90:91], s[90:91], exec
	s_and_saveexec_b64 s[94:95], s[92:93]
	s_cbranch_execz .LBB6_250
	s_branch .LBB6_254
.LBB6_253:                              ;   in Loop: Header=BB6_251 Depth=3
	s_trap 2
	ds_read_b64 v[1:2], v0
	s_andn2_b64 s[92:93], s[92:93], exec
	s_mov_b32 s30, 0
	s_waitcnt vmcnt(0) lgkmcnt(0)
	flat_load_dword v1, v[1:2] glc
	s_waitcnt vmcnt(0) lgkmcnt(0)
	buffer_wbinvl1_vol
	v_cmp_eq_u32_e32 vcc, 0, v1
	s_and_b64 s[94:95], vcc, exec
	s_or_b64 s[92:93], s[92:93], s[94:95]
	s_mov_b64 vcc, -1
	s_or_b64 s[90:91], s[90:91], exec
	s_and_saveexec_b64 s[94:95], s[92:93]
	s_cbranch_execz .LBB6_250
.LBB6_254:                              ;   in Loop: Header=BB6_251 Depth=3
	s_sleep 1
	s_trap 2
	ds_read_b64 v[1:2], v0
	s_waitcnt lgkmcnt(0)
	s_andn2_b64 s[90:91], s[90:91], exec
	v_cmp_ge_u64_e32 vcc, v[1:2], v[56:57]
	s_orn2_b64 vcc, vcc, exec
	s_branch .LBB6_250
.LBB6_255:                              ;   in Loop: Header=BB6_197 Depth=2
	s_or_b64 exec, exec, s[78:79]
	s_and_saveexec_b64 s[78:79], s[88:89]
	s_xor_b64 s[78:79], exec, s[78:79]
	s_cbranch_execz .LBB6_257
; %bb.256:                              ;   in Loop: Header=BB6_197 Depth=2
	ds_write_b32 v0, v54
	s_trap 2
.LBB6_257:                              ;   in Loop: Header=BB6_197 Depth=2
	s_or_b64 exec, exec, s[76:77]
	;;#ASMSTART
	s_wakeup
	;;#ASMEND
.LBB6_258:                              ;   in Loop: Header=BB6_197 Depth=2
	s_or_b64 exec, exec, s[74:75]
.LBB6_259:                              ;   in Loop: Header=BB6_197 Depth=2
	s_andn2_saveexec_b64 s[42:43], s[42:43]
	s_cbranch_execz .LBB6_261
; %bb.260:                              ;   in Loop: Header=BB6_197 Depth=2
	;;#ASMSTART
	s_waitcnt lgkmcnt(0) vmcnt(0)
	;;#ASMEND
	s_waitcnt vmcnt(0) lgkmcnt(0)
	s_barrier
.LBB6_261:                              ;   in Loop: Header=BB6_197 Depth=2
	s_or_b64 exec, exec, s[42:43]
	v_and_b32_e32 v1, 16, v45
	s_or_b64 exec, exec, s[26:27]
	v_cmp_ne_u32_e32 vcc, 0, v1
	s_and_saveexec_b64 s[26:27], vcc
	s_cbranch_execz .LBB6_196
.LBB6_262:                              ;   in Loop: Header=BB6_197 Depth=2
	s_mov_b64 s[42:43], exec
	v_readlane_b32 s74, v62, 8
	v_readlane_b32 s75, v62, 9
	s_and_b64 s[74:75], s[42:43], s[74:75]
	s_mov_b64 exec, s[74:75]
	s_cbranch_execz .LBB6_195
; %bb.263:                              ;   in Loop: Header=BB6_197 Depth=2
	s_waitcnt vmcnt(0)
	flat_store_dword v[40:41], v54
	s_branch .LBB6_195
.LBB6_264:                              ;   in Loop: Header=BB6_47 Depth=1
	s_or_b64 exec, exec, s[40:41]
.LBB6_265:                              ;   in Loop: Header=BB6_47 Depth=1
	s_or_b64 exec, exec, s[28:29]
	v_readlane_b32 s26, v62, 16
	v_readlane_b32 s27, v62, 17
	v_cndmask_b32_e64 v0, 0, 1, s[26:27]
	v_cmp_ne_u32_e64 s[28:29], 1, v0
	v_writelane_b32 v62, s28, 21
	v_writelane_b32 v62, s29, 22
	s_andn2_b64 vcc, exec, s[26:27]
	s_cbranch_vccnz .LBB6_488
; %bb.266:                              ;   in Loop: Header=BB6_47 Depth=1
	s_mov_b32 s26, 2
	s_branch .LBB6_269
.LBB6_267:                              ;   in Loop: Header=BB6_269 Depth=2
	s_or_b64 exec, exec, s[42:43]
.LBB6_268:                              ;   in Loop: Header=BB6_269 Depth=2
	s_or_b64 exec, exec, s[40:41]
	s_add_i32 s26, s26, 1
	s_cmp_eq_u32 s26, s50
	s_cbranch_scc1 .LBB6_488
.LBB6_269:                              ;   Parent Loop BB6_47 Depth=1
                                        ; =>  This Loop Header: Depth=2
                                        ;       Child Loop BB6_272 Depth 3
                                        ;         Child Loop BB6_280 Depth 4
                                        ;         Child Loop BB6_308 Depth 4
	;; [unrolled: 1-line block ×9, first 2 shown]
                                        ;       Child Loop BB6_416 Depth 3
                                        ;         Child Loop BB6_422 Depth 4
                                        ;         Child Loop BB6_450 Depth 4
	;; [unrolled: 1-line block ×3, first 2 shown]
	buffer_load_dword v2, off, s[0:3], s33 offset:352 ; 4-byte Folded Reload
	buffer_load_dword v3, off, s[0:3], s33 offset:356 ; 4-byte Folded Reload
	v_readlane_b32 s27, v62, 13
	s_sub_i32 s27, s27, s26
	s_cmp_ge_i32 s27, s50
	s_cselect_b32 s28, s50, 0
	s_sub_i32 s27, s27, s28
	s_ashr_i32 s40, s27, 31
	v_mov_b32_e32 v7, 0
	s_waitcnt vmcnt(0)
	v_mad_u64_u32 v[5:6], s[28:29], v2, s27, 0
	v_mul_lo_u32 v0, v3, s27
	v_mul_lo_u32 v1, v2, s40
	v_add3_u32 v6, v6, v1, v0
	buffer_load_dword v0, off, s[0:3], s33 offset:344 ; 4-byte Folded Reload
	buffer_load_dword v1, off, s[0:3], s33 offset:348 ; 4-byte Folded Reload
	s_waitcnt vmcnt(0)
	v_sub_co_u32_e32 v0, vcc, v0, v5
	v_subb_co_u32_e32 v1, vcc, v1, v6, vcc
	v_cmp_lt_i64_e32 vcc, v[2:3], v[0:1]
	v_cndmask_b32_e32 v0, v0, v2, vcc
	v_max_i32_e32 v44, 0, v0
	v_add_u32_e32 v1, 31, v44
	v_lshrrev_b32_e32 v1, 1, v1
	v_and_b32_e32 v1, 0x3ffffff0, v1
	v_cmp_lt_i32_e32 vcc, 0, v0
	v_max_i32_e32 v17, s98, v1
	s_and_b64 s[28:29], s[72:73], vcc
	v_mov_b32_e32 v0, 0
	s_and_saveexec_b64 s[40:41], s[28:29]
	s_cbranch_execz .LBB6_413
; %bb.270:                              ;   in Loop: Header=BB6_269 Depth=2
	s_mov_b32 s27, 1
	s_mov_b64 s[74:75], -1
	v_mov_b32_e32 v7, 0
	s_mov_b64 s[42:43], 0
	buffer_store_dword v5, off, s[0:3], s33 offset:276 ; 4-byte Folded Spill
	s_nop 0
	buffer_store_dword v6, off, s[0:3], s33 offset:280 ; 4-byte Folded Spill
	buffer_store_dword v44, off, s[0:3], s33 offset:360 ; 4-byte Folded Spill
	s_branch .LBB6_272
.LBB6_271:                              ;   in Loop: Header=BB6_272 Depth=3
	s_or_b64 exec, exec, s[28:29]
	v_add_u32_e32 v7, v17, v7
	v_cmp_ge_i32_e32 vcc, v7, v44
	s_xor_b64 s[28:29], s[74:75], -1
	s_or_b64 s[28:29], s[28:29], vcc
	s_and_b64 s[28:29], exec, s[28:29]
	s_or_b64 s[42:43], s[28:29], s[42:43]
	s_mov_b64 s[74:75], 0
	v_mov_b32_e32 v0, s27
	s_mov_b32 s27, 2
	s_andn2_b64 exec, exec, s[42:43]
	s_cbranch_execz .LBB6_412
.LBB6_272:                              ;   Parent Loop BB6_47 Depth=1
                                        ;     Parent Loop BB6_269 Depth=2
                                        ; =>    This Loop Header: Depth=3
                                        ;         Child Loop BB6_280 Depth 4
                                        ;         Child Loop BB6_308 Depth 4
	;; [unrolled: 1-line block ×9, first 2 shown]
	s_and_saveexec_b64 s[28:29], s[4:5]
	s_cbranch_execz .LBB6_274
; %bb.273:                              ;   in Loop: Header=BB6_272 Depth=3
	s_trap 2
	buffer_load_dword v2, off, s[0:3], s33 offset:176 ; 4-byte Folded Reload
	ds_read_b64 v[0:1], v0
	v_mov_b32_e32 v52, v51
	s_waitcnt vmcnt(0) lgkmcnt(0)
	v_add_co_u32_e32 v0, vcc, v0, v2
	buffer_load_dword v2, off, s[0:3], s33 offset:180 ; 4-byte Folded Reload
	s_waitcnt vmcnt(0)
	v_addc_co_u32_e32 v1, vcc, v1, v2, vcc
	v_add_co_u32_e32 v0, vcc, v0, v5
	v_addc_co_u32_e32 v1, vcc, v1, v6, vcc
	v_ashrrev_i32_e32 v2, 31, v7
	v_add_co_u32_e32 v0, vcc, v0, v7
	v_addc_co_u32_e32 v1, vcc, v1, v2, vcc
	ds_write_b64 v0, v[0:1]
	ds_write_b64 v0, v[51:52]
.LBB6_274:                              ;   in Loop: Header=BB6_272 Depth=3
	s_or_b64 exec, exec, s[28:29]
	v_sub_u32_e32 v0, v44, v7
	v_min_i32_e32 v17, v17, v0
	v_and_b32_e32 v0, 12, v45
	v_cmp_ne_u32_e32 vcc, 0, v0
	s_and_saveexec_b64 s[76:77], vcc
	s_cbranch_execz .LBB6_300
; %bb.275:                              ;   in Loop: Header=BB6_272 Depth=3
	v_and_b32_e32 v0, 8, v45
	s_waitcnt vmcnt(0) lgkmcnt(0)
	v_add_co_u32_e32 v1, vcc, v37, v0
	v_addc_co_u32_e32 v2, vcc, 0, v38, vcc
	v_add_co_u32_e32 v8, vcc, 2, v15
	v_addc_co_u32_e32 v9, vcc, 0, v16, vcc
	v_cmp_lt_u64_e32 vcc, v[1:2], v[8:9]
	s_and_saveexec_b64 s[78:79], vcc
	s_cbranch_execz .LBB6_287
; %bb.276:                              ;   in Loop: Header=BB6_272 Depth=3
	v_and_b32_e32 v1, 64, v45
	s_mov_b32 s87, 0
	v_cmp_eq_u32_e32 vcc, 0, v1
	s_mov_b64 s[88:89], 0
                                        ; implicit-def: $sgpr90_sgpr91
                                        ; implicit-def: $sgpr92_sgpr93
                                        ; implicit-def: $sgpr94_sgpr95
	s_branch .LBB6_280
.LBB6_277:                              ;   in Loop: Header=BB6_280 Depth=4
	s_waitcnt vmcnt(0) lgkmcnt(0)
	v_add_co_u32_e64 v2, s[28:29], v37, v0
	v_addc_co_u32_e64 v3, s[28:29], 0, v38, s[28:29]
	v_cmp_ge_u64_e64 s[28:29], v[2:3], v[8:9]
	s_or_b64 s[36:37], s[36:37], exec
	s_orn2_b64 s[34:35], s[28:29], exec
.LBB6_278:                              ;   in Loop: Header=BB6_280 Depth=4
	s_or_b64 exec, exec, s[48:49]
	s_andn2_b64 s[28:29], s[94:95], exec
	s_and_b64 s[94:95], s[36:37], exec
	s_or_b64 s[94:95], s[28:29], s[94:95]
	s_andn2_b64 s[28:29], s[92:93], exec
	s_and_b64 s[92:93], s[34:35], exec
	s_or_b64 s[92:93], s[28:29], s[92:93]
.LBB6_279:                              ;   in Loop: Header=BB6_280 Depth=4
	s_or_b64 exec, exec, s[30:31]
	s_and_b64 s[28:29], exec, s[92:93]
	s_or_b64 s[88:89], s[28:29], s[88:89]
	s_andn2_b64 s[28:29], s[90:91], exec
	s_and_b64 s[90:91], s[94:95], exec
	s_or_b64 s[90:91], s[28:29], s[90:91]
	s_andn2_b64 exec, exec, s[88:89]
	s_cbranch_execz .LBB6_284
.LBB6_280:                              ;   Parent Loop BB6_47 Depth=1
                                        ;     Parent Loop BB6_269 Depth=2
                                        ;       Parent Loop BB6_272 Depth=3
                                        ; =>      This Inner Loop Header: Depth=4
	s_sleep 1
	s_waitcnt vmcnt(0) lgkmcnt(0)
	flat_load_dwordx2 v[37:38], v[42:43] glc
	s_or_b64 s[94:95], s[94:95], exec
	s_or_b64 s[92:93], s[92:93], exec
                                        ; implicit-def: $vgpr1
	s_and_saveexec_b64 s[30:31], vcc
	s_cbranch_execz .LBB6_279
; %bb.281:                              ;   in Loop: Header=BB6_280 Depth=4
	s_cmpk_lt_i32 s87, 0x270f
	s_cselect_b64 s[38:39], -1, 0
	s_cmpk_gt_i32 s87, 0x270e
	s_mov_b64 s[34:35], -1
	s_cbranch_scc0 .LBB6_283
; %bb.282:                              ;   in Loop: Header=BB6_280 Depth=4
	s_trap 2
	ds_read_b64 v[1:2], v0
	s_andn2_b64 s[38:39], s[38:39], exec
	s_mov_b32 s87, 0
	s_mov_b64 s[36:37], 0
	s_waitcnt vmcnt(0) lgkmcnt(0)
	flat_load_dword v1, v[1:2] glc
	s_waitcnt vmcnt(0) lgkmcnt(0)
	buffer_wbinvl1_vol
	v_cmp_eq_u32_e64 s[28:29], 0, v1
	s_and_b64 s[28:29], s[28:29], exec
	s_or_b64 s[38:39], s[38:39], s[28:29]
	s_and_saveexec_b64 s[48:49], s[38:39]
	s_cbranch_execz .LBB6_278
	s_branch .LBB6_277
.LBB6_283:                              ;   in Loop: Header=BB6_280 Depth=4
	s_add_i32 s87, s87, 1
	s_mov_b64 s[36:37], -1
                                        ; implicit-def: $vgpr1
	s_and_saveexec_b64 s[48:49], s[38:39]
	s_cbranch_execz .LBB6_278
	s_branch .LBB6_277
.LBB6_284:                              ;   in Loop: Header=BB6_272 Depth=3
	s_or_b64 exec, exec, s[88:89]
	s_xor_b64 s[28:29], s[90:91], -1
	s_and_saveexec_b64 s[88:89], s[28:29]
	s_xor_b64 s[28:29], exec, s[88:89]
	s_cbranch_execz .LBB6_286
; %bb.285:                              ;   in Loop: Header=BB6_272 Depth=3
	v_or_b32_e32 v45, 64, v45
	s_waitcnt lgkmcnt(0)
	ds_write_b32 v0, v1
	s_trap 2
.LBB6_286:                              ;   in Loop: Header=BB6_272 Depth=3
	s_or_b64 exec, exec, s[28:29]
.LBB6_287:                              ;   in Loop: Header=BB6_272 Depth=3
	s_or_b64 exec, exec, s[78:79]
	v_and_b32_e32 v1, 0x108, v45
	v_cmp_ne_u32_e32 vcc, s55, v1
	;;#ASMSTART
	s_wakeup
	;;#ASMEND
                                        ; implicit-def: $vgpr10_vgpr11
	s_and_saveexec_b64 s[28:29], vcc
	s_xor_b64 s[28:29], exec, s[28:29]
; %bb.288:                              ;   in Loop: Header=BB6_272 Depth=3
	v_and_b32_e32 v10, 7, v15
	v_mov_b32_e32 v11, v51
                                        ; implicit-def: $vgpr15_vgpr16
; %bb.289:                              ;   in Loop: Header=BB6_272 Depth=3
	s_andn2_saveexec_b64 s[28:29], s[28:29]
	s_cbranch_execz .LBB6_291
; %bb.290:                              ;   in Loop: Header=BB6_272 Depth=3
	buffer_load_dword v1, off, s[0:3], s33 offset:120 ; 4-byte Folded Reload
	buffer_load_dword v2, off, s[0:3], s33 offset:124 ; 4-byte Folded Reload
	;; [unrolled: 1-line block ×4, first 2 shown]
	v_and_b32_e32 v10, 7, v15
	v_mov_b32_e32 v11, v51
	v_ashrrev_i32_e32 v18, 31, v17
	s_waitcnt vmcnt(0)
	v_mad_u64_u32 v[1:2], s[78:79], v10, 24, v[1:2]
	flat_store_dwordx2 v[1:2], v[17:18] offset:8
.LBB6_291:                              ;   in Loop: Header=BB6_272 Depth=3
	s_or_b64 exec, exec, s[28:29]
	v_and_b32_e32 v1, 0x100, v45
	v_cmp_ne_u32_e32 vcc, 0, v1
	s_mov_b64 s[28:29], -1
                                        ; implicit-def: $vgpr12_vgpr13
	s_and_saveexec_b64 s[78:79], vcc
	s_cbranch_execz .LBB6_295
; %bb.292:                              ;   in Loop: Header=BB6_272 Depth=3
	buffer_load_dword v1, off, s[0:3], s33 offset:120 ; 4-byte Folded Reload
	buffer_load_dword v2, off, s[0:3], s33 offset:124 ; 4-byte Folded Reload
	;; [unrolled: 1-line block ×4, first 2 shown]
                                        ; implicit-def: $vgpr12_vgpr13
	s_waitcnt vmcnt(0)
	v_mad_u64_u32 v[14:15], s[28:29], v10, 24, v[1:2]
	v_mov_b32_e32 v1, v15
	v_mad_u64_u32 v[1:2], s[28:29], v11, 24, v[1:2]
	v_mov_b32_e32 v15, v1
	flat_load_dword v1, v[14:15]
	s_waitcnt vmcnt(0) lgkmcnt(0)
	v_cmp_ne_u32_e32 vcc, 1, v1
	v_cmp_eq_u32_e64 s[28:29], 1, v1
	s_and_saveexec_b64 s[88:89], s[28:29]
	s_cbranch_execz .LBB6_294
; %bb.293:                              ;   in Loop: Header=BB6_272 Depth=3
	flat_load_dword v12, v[14:15] offset:4 glc
	s_waitcnt vmcnt(0) lgkmcnt(0)
	v_ashrrev_i32_e32 v13, 31, v12
.LBB6_294:                              ;   in Loop: Header=BB6_272 Depth=3
	s_or_b64 exec, exec, s[88:89]
	s_orn2_b64 s[28:29], vcc, exec
.LBB6_295:                              ;   in Loop: Header=BB6_272 Depth=3
	s_or_b64 exec, exec, s[78:79]
	s_and_saveexec_b64 s[78:79], s[28:29]
	s_cbranch_execz .LBB6_297
; %bb.296:                              ;   in Loop: Header=BB6_272 Depth=3
	buffer_load_dword v3, off, s[0:3], s33 offset:144 ; 4-byte Folded Reload
	v_mul_lo_u32 v2, v10, v39
	s_waitcnt vmcnt(0)
	v_mul_lo_u32 v1, v11, v3
	v_mad_u64_u32 v[12:13], s[28:29], v10, v3, 0
	v_add3_u32 v13, v13, v2, v1
.LBB6_297:                              ;   in Loop: Header=BB6_272 Depth=3
	s_or_b64 exec, exec, s[78:79]
	v_cmp_eq_u32_e32 vcc, 0, v0
	v_cndmask_b32_e32 v2, v26, v24, vcc
	v_add_co_u32_e32 v0, vcc, v48, v12
	v_addc_co_u32_e32 v1, vcc, v49, v13, vcc
	v_add_u32_e32 v2, v0, v2
	ds_write_b64 v2, v[0:1] offset:584
	v_and_b32_e32 v0, 0x2000, v45
	v_cmp_ne_u32_e32 vcc, 0, v0
	s_and_saveexec_b64 s[28:29], vcc
	s_cbranch_execz .LBB6_299
; %bb.298:                              ;   in Loop: Header=BB6_272 Depth=3
	ds_read_b64 v[0:1], v0 offset:872
	s_waitcnt lgkmcnt(0)
	v_add_co_u32_e32 v0, vcc, 1, v0
	v_addc_co_u32_e32 v1, vcc, 0, v1, vcc
	ds_write_b64 v0, v[0:1] offset:872
.LBB6_299:                              ;   in Loop: Header=BB6_272 Depth=3
	s_or_b64 exec, exec, s[28:29]
	v_mov_b32_e32 v16, v9
	v_mov_b32_e32 v15, v8
.LBB6_300:                              ;   in Loop: Header=BB6_272 Depth=3
	s_or_b64 exec, exec, s[76:77]
	s_and_saveexec_b64 s[28:29], s[10:11]
	s_cbranch_execz .LBB6_319
; %bb.301:                              ;   in Loop: Header=BB6_272 Depth=3
	s_and_saveexec_b64 s[76:77], s[56:57]
	s_xor_b64 s[76:77], exec, s[76:77]
	s_cbranch_execz .LBB6_316
; %bb.302:                              ;   in Loop: Header=BB6_272 Depth=3
	s_and_saveexec_b64 s[78:79], s[16:17]
	s_cbranch_execz .LBB6_315
; %bb.303:                              ;   in Loop: Header=BB6_272 Depth=3
	s_mov_b64 s[90:91], exec
	v_mbcnt_lo_u32_b32 v0, s90, 0
	v_mbcnt_hi_u32_b32 v0, s91, v0
	v_cmp_eq_u32_e32 vcc, 0, v0
	s_waitcnt vmcnt(0) lgkmcnt(0)
	buffer_wbinvl1_vol
	s_and_saveexec_b64 s[88:89], vcc
	s_cbranch_execz .LBB6_305
; %bb.304:                              ;   in Loop: Header=BB6_272 Depth=3
	s_bcnt1_i32_b64 s90, s[90:91]
	v_mov_b32_e32 v0, s90
	v_mov_b32_e32 v1, v51
	ds_add_u64 v0, v[0:1]
	s_trap 2
.LBB6_305:                              ;   in Loop: Header=BB6_272 Depth=3
	s_or_b64 exec, exec, s[88:89]
	s_trap 2
	ds_read_b64 v[0:1], v0
	s_waitcnt lgkmcnt(0)
	v_add_co_u32_e32 v56, vcc, v56, v53
	v_addc_co_u32_e32 v57, vcc, 0, v57, vcc
	v_cmp_lt_u64_e32 vcc, v[0:1], v[56:57]
	s_and_saveexec_b64 s[88:89], vcc
	s_cbranch_execz .LBB6_314
; %bb.306:                              ;   in Loop: Header=BB6_272 Depth=3
	s_mov_b32 s36, 0
	s_mov_b64 s[90:91], 0
                                        ; implicit-def: $sgpr92_sgpr93
                                        ; implicit-def: $sgpr94_sgpr95
	s_branch .LBB6_308
.LBB6_307:                              ;   in Loop: Header=BB6_308 Depth=4
	s_or_b64 exec, exec, s[34:35]
	s_and_b64 vcc, exec, vcc
	s_or_b64 s[90:91], vcc, s[90:91]
	s_andn2_b64 s[92:93], s[92:93], exec
	s_and_b64 vcc, s[94:95], exec
	s_or_b64 s[92:93], s[92:93], vcc
	s_andn2_b64 exec, exec, s[90:91]
	s_cbranch_execz .LBB6_312
.LBB6_308:                              ;   Parent Loop BB6_47 Depth=1
                                        ;     Parent Loop BB6_269 Depth=2
                                        ;       Parent Loop BB6_272 Depth=3
                                        ; =>      This Inner Loop Header: Depth=4
	s_add_i32 s36, s36, 1
	s_cmpk_lg_i32 s36, 0x2710
	s_cselect_b64 s[30:31], -1, 0
	s_and_b64 vcc, exec, s[30:31]
	s_cbranch_vccz .LBB6_310
; %bb.309:                              ;   in Loop: Header=BB6_308 Depth=4
	s_mov_b64 vcc, -1
	s_or_b64 s[94:95], s[94:95], exec
	s_and_saveexec_b64 s[34:35], s[30:31]
	s_cbranch_execz .LBB6_307
	s_branch .LBB6_311
.LBB6_310:                              ;   in Loop: Header=BB6_308 Depth=4
	s_trap 2
	ds_read_b64 v[0:1], v0
	s_andn2_b64 s[30:31], s[30:31], exec
	s_mov_b32 s36, 0
	s_waitcnt lgkmcnt(0)
	flat_load_dword v0, v[0:1] glc
	s_waitcnt vmcnt(0) lgkmcnt(0)
	buffer_wbinvl1_vol
	v_cmp_eq_u32_e32 vcc, 0, v0
	s_and_b64 vcc, vcc, exec
	s_or_b64 s[30:31], s[30:31], vcc
	s_mov_b64 vcc, -1
	s_or_b64 s[94:95], s[94:95], exec
	s_and_saveexec_b64 s[34:35], s[30:31]
	s_cbranch_execz .LBB6_307
.LBB6_311:                              ;   in Loop: Header=BB6_308 Depth=4
	s_sleep 1
	s_trap 2
	ds_read_b64 v[0:1], v0
	s_waitcnt lgkmcnt(0)
	s_andn2_b64 s[94:95], s[94:95], exec
	v_cmp_ge_u64_e32 vcc, v[0:1], v[56:57]
	s_orn2_b64 vcc, vcc, exec
	s_branch .LBB6_307
.LBB6_312:                              ;   in Loop: Header=BB6_272 Depth=3
	s_or_b64 exec, exec, s[90:91]
	s_and_saveexec_b64 s[90:91], s[92:93]
	s_xor_b64 s[90:91], exec, s[90:91]
	s_cbranch_execz .LBB6_314
; %bb.313:                              ;   in Loop: Header=BB6_272 Depth=3
	ds_write_b32 v0, v54
	s_trap 2
.LBB6_314:                              ;   in Loop: Header=BB6_272 Depth=3
	s_or_b64 exec, exec, s[88:89]
	;;#ASMSTART
	s_wakeup
	;;#ASMEND
.LBB6_315:                              ;   in Loop: Header=BB6_272 Depth=3
	s_or_b64 exec, exec, s[78:79]
.LBB6_316:                              ;   in Loop: Header=BB6_272 Depth=3
	s_andn2_saveexec_b64 s[76:77], s[76:77]
	s_cbranch_execz .LBB6_318
; %bb.317:                              ;   in Loop: Header=BB6_272 Depth=3
	s_waitcnt vmcnt(0) lgkmcnt(0)
	buffer_wbinvl1_vol
	s_barrier
.LBB6_318:                              ;   in Loop: Header=BB6_272 Depth=3
	s_or_b64 exec, exec, s[76:77]
.LBB6_319:                              ;   in Loop: Header=BB6_272 Depth=3
	s_or_b64 exec, exec, s[28:29]
	s_trap 2
	ds_read_b32 v0, v0
	v_and_b32_e32 v1, 0x4000, v45
	v_cmp_ne_u32_e32 vcc, 0, v1
	s_xor_b64 s[28:29], s[6:7], -1
	s_and_b64 s[76:77], s[28:29], vcc
	s_and_saveexec_b64 s[28:29], s[76:77]
	s_cbranch_execz .LBB6_338
; %bb.320:                              ;   in Loop: Header=BB6_272 Depth=3
	s_and_saveexec_b64 s[76:77], s[56:57]
	s_xor_b64 s[76:77], exec, s[76:77]
	s_cbranch_execz .LBB6_335
; %bb.321:                              ;   in Loop: Header=BB6_272 Depth=3
	s_and_saveexec_b64 s[78:79], s[16:17]
	s_cbranch_execz .LBB6_334
; %bb.322:                              ;   in Loop: Header=BB6_272 Depth=3
	s_mov_b64 s[90:91], exec
	v_mbcnt_lo_u32_b32 v1, s90, 0
	v_mbcnt_hi_u32_b32 v1, s91, v1
	v_cmp_eq_u32_e32 vcc, 0, v1
	s_waitcnt vmcnt(0) lgkmcnt(0)
	buffer_wbinvl1_vol
	s_and_saveexec_b64 s[88:89], vcc
	s_cbranch_execz .LBB6_324
; %bb.323:                              ;   in Loop: Header=BB6_272 Depth=3
	s_bcnt1_i32_b64 s90, s[90:91]
	v_mov_b32_e32 v1, s90
	v_mov_b32_e32 v2, v51
	ds_add_u64 v0, v[1:2]
	s_trap 2
.LBB6_324:                              ;   in Loop: Header=BB6_272 Depth=3
	s_or_b64 exec, exec, s[88:89]
	s_trap 2
	ds_read_b64 v[1:2], v0
	s_waitcnt lgkmcnt(0)
	v_add_co_u32_e32 v56, vcc, v56, v53
	v_addc_co_u32_e32 v57, vcc, 0, v57, vcc
	v_cmp_lt_u64_e32 vcc, v[1:2], v[56:57]
	s_and_saveexec_b64 s[88:89], vcc
	s_cbranch_execz .LBB6_333
; %bb.325:                              ;   in Loop: Header=BB6_272 Depth=3
	s_mov_b32 s36, 0
	s_mov_b64 s[90:91], 0
                                        ; implicit-def: $sgpr92_sgpr93
                                        ; implicit-def: $sgpr94_sgpr95
	s_branch .LBB6_327
.LBB6_326:                              ;   in Loop: Header=BB6_327 Depth=4
	s_or_b64 exec, exec, s[34:35]
	s_and_b64 vcc, exec, vcc
	s_or_b64 s[90:91], vcc, s[90:91]
	s_andn2_b64 s[92:93], s[92:93], exec
	s_and_b64 vcc, s[94:95], exec
	s_or_b64 s[92:93], s[92:93], vcc
	s_andn2_b64 exec, exec, s[90:91]
	s_cbranch_execz .LBB6_331
.LBB6_327:                              ;   Parent Loop BB6_47 Depth=1
                                        ;     Parent Loop BB6_269 Depth=2
                                        ;       Parent Loop BB6_272 Depth=3
                                        ; =>      This Inner Loop Header: Depth=4
	s_add_i32 s36, s36, 1
	s_cmpk_lg_i32 s36, 0x2710
	s_cselect_b64 s[30:31], -1, 0
	s_and_b64 vcc, exec, s[30:31]
	s_cbranch_vccz .LBB6_329
; %bb.328:                              ;   in Loop: Header=BB6_327 Depth=4
	s_mov_b64 vcc, -1
	s_or_b64 s[94:95], s[94:95], exec
	s_and_saveexec_b64 s[34:35], s[30:31]
	s_cbranch_execz .LBB6_326
	s_branch .LBB6_330
.LBB6_329:                              ;   in Loop: Header=BB6_327 Depth=4
	s_trap 2
	ds_read_b64 v[1:2], v0
	s_andn2_b64 s[30:31], s[30:31], exec
	s_mov_b32 s36, 0
	s_waitcnt lgkmcnt(0)
	flat_load_dword v1, v[1:2] glc
	s_waitcnt vmcnt(0) lgkmcnt(0)
	buffer_wbinvl1_vol
	v_cmp_eq_u32_e32 vcc, 0, v1
	s_and_b64 vcc, vcc, exec
	s_or_b64 s[30:31], s[30:31], vcc
	s_mov_b64 vcc, -1
	s_or_b64 s[94:95], s[94:95], exec
	s_and_saveexec_b64 s[34:35], s[30:31]
	s_cbranch_execz .LBB6_326
.LBB6_330:                              ;   in Loop: Header=BB6_327 Depth=4
	s_sleep 1
	s_trap 2
	ds_read_b64 v[1:2], v0
	s_waitcnt lgkmcnt(0)
	s_andn2_b64 s[94:95], s[94:95], exec
	v_cmp_ge_u64_e32 vcc, v[1:2], v[56:57]
	s_orn2_b64 vcc, vcc, exec
	s_branch .LBB6_326
.LBB6_331:                              ;   in Loop: Header=BB6_272 Depth=3
	s_or_b64 exec, exec, s[90:91]
	s_and_saveexec_b64 s[90:91], s[92:93]
	s_xor_b64 s[90:91], exec, s[90:91]
	s_cbranch_execz .LBB6_333
; %bb.332:                              ;   in Loop: Header=BB6_272 Depth=3
	ds_write_b32 v0, v54
	s_trap 2
.LBB6_333:                              ;   in Loop: Header=BB6_272 Depth=3
	s_or_b64 exec, exec, s[88:89]
	;;#ASMSTART
	s_wakeup
	;;#ASMEND
.LBB6_334:                              ;   in Loop: Header=BB6_272 Depth=3
	s_or_b64 exec, exec, s[78:79]
.LBB6_335:                              ;   in Loop: Header=BB6_272 Depth=3
	s_andn2_saveexec_b64 s[76:77], s[76:77]
	s_cbranch_execz .LBB6_337
; %bb.336:                              ;   in Loop: Header=BB6_272 Depth=3
	s_waitcnt vmcnt(0) lgkmcnt(0)
	buffer_wbinvl1_vol
	s_barrier
.LBB6_337:                              ;   in Loop: Header=BB6_272 Depth=3
	s_or_b64 exec, exec, s[76:77]
.LBB6_338:                              ;   in Loop: Header=BB6_272 Depth=3
	s_or_b64 exec, exec, s[28:29]
	s_trap 2
	s_waitcnt lgkmcnt(0)
	ds_read_b64 v[28:29], v0
	s_waitcnt lgkmcnt(0)
	v_cmp_eq_u64_e32 vcc, 0, v[28:29]
	s_cbranch_vccnz .LBB6_346
; %bb.339:                              ;   in Loop: Header=BB6_272 Depth=3
	s_trap 2
	ds_read_b64 v[30:31], v0
	s_waitcnt lgkmcnt(0)
	v_cmp_eq_u64_e32 vcc, 0, v[30:31]
	s_cbranch_vccnz .LBB6_346
; %bb.340:                              ;   in Loop: Header=BB6_272 Depth=3
	s_mov_b64 s[28:29], -1
	s_and_saveexec_b64 s[76:77], s[22:23]
	s_cbranch_execz .LBB6_342
; %bb.341:                              ;   in Loop: Header=BB6_272 Depth=3
	ds_read_b32 v1, v0 offset:720
	s_waitcnt lgkmcnt(0)
	v_and_b32_e32 v1, 15, v1
	v_cmp_eq_u32_e32 vcc, 0, v1
	s_orn2_b64 s[28:29], vcc, exec
.LBB6_342:                              ;   in Loop: Header=BB6_272 Depth=3
	s_or_b64 exec, exec, s[76:77]
	s_and_saveexec_b64 s[76:77], s[20:21]
	s_cbranch_execz .LBB6_344
; %bb.343:                              ;   in Loop: Header=BB6_272 Depth=3
	ds_read_b32 v1, v0 offset:784
	s_waitcnt lgkmcnt(0)
	v_and_b32_e32 v1, 15, v1
	v_cmp_eq_u32_e32 vcc, 0, v1
	s_and_b64 s[78:79], s[28:29], vcc
	s_andn2_b64 s[28:29], s[28:29], exec
	s_and_b64 s[78:79], s[78:79], exec
	s_or_b64 s[28:29], s[28:29], s[78:79]
.LBB6_344:                              ;   in Loop: Header=BB6_272 Depth=3
	s_or_b64 exec, exec, s[76:77]
	buffer_load_dword v2, off, s[0:3], s33 offset:148 ; 4-byte Folded Reload
	v_cmp_eq_u32_e32 vcc, 0, v0
	s_xor_b64 s[28:29], s[28:29], -1
	v_cndmask_b32_e32 v52, 0, v17, vcc
	v_cndmask_b32_e64 v0, 0, 1, s[28:29]
	s_mov_b64 s[78:79], -1
	v_cmp_ne_u32_e32 vcc, 0, v0
	v_mov_b32_e32 v4, 0
	v_mov_b32_e32 v3, v52
	s_cbranch_vccz .LBB6_351
; %bb.345:                              ;   in Loop: Header=BB6_272 Depth=3
	s_and_saveexec_b64 s[28:29], s[78:79]
	s_cbranch_execnz .LBB6_362
	s_branch .LBB6_370
.LBB6_346:                              ;   in Loop: Header=BB6_272 Depth=3
	s_mov_b64 s[28:29], 0
	s_and_saveexec_b64 s[76:77], s[10:11]
	s_cbranch_execnz .LBB6_371
.LBB6_347:                              ;   in Loop: Header=BB6_272 Depth=3
	s_or_b64 exec, exec, s[76:77]
                                        ; implicit-def: $vgpr0
	s_and_saveexec_b64 s[76:77], s[24:25]
	s_xor_b64 s[76:77], exec, s[76:77]
	s_cbranch_execz .LBB6_389
.LBB6_348:                              ;   in Loop: Header=BB6_272 Depth=3
	v_and_b32_e32 v1, 16, v45
	v_cmp_ne_u32_e32 vcc, 0, v1
	v_and_b32_e32 v0, 16, v45
	s_and_b64 s[78:79], vcc, s[28:29]
	s_and_saveexec_b64 s[28:29], s[78:79]
	s_cbranch_execz .LBB6_350
; %bb.349:                              ;   in Loop: Header=BB6_272 Depth=3
	v_mov_b32_e32 v0, 1
	s_waitcnt vmcnt(0) lgkmcnt(0)
	buffer_wbinvl1_vol
.LBB6_350:                              ;   in Loop: Header=BB6_272 Depth=3
	s_or_b64 exec, exec, s[28:29]
	s_andn2_saveexec_b64 s[28:29], s[76:77]
	s_cbranch_execz .LBB6_408
	s_branch .LBB6_390
.LBB6_351:                              ;   in Loop: Header=BB6_272 Depth=3
	v_ashrrev_i32_e32 v0, 31, v52
	v_lshrrev_b32_e32 v0, 20, v0
	v_add_u32_e32 v0, v52, v0
	v_ashrrev_i32_e32 v1, 12, v0
	buffer_load_dword v0, off, s[0:3], s33 offset:228 ; 4-byte Folded Reload
	s_waitcnt vmcnt(0)
	v_sub_u32_e32 v6, v1, v0
	v_cmp_lt_i32_e32 vcc, 0, v6
	s_and_saveexec_b64 s[28:29], vcc
	s_cbranch_execz .LBB6_355
; %bb.352:                              ;   in Loop: Header=BB6_272 Depth=3
	buffer_store_dword v52, off, s[0:3], s33 offset:244 ; 4-byte Folded Spill
	buffer_store_dword v7, off, s[0:3], s33 offset:240 ; 4-byte Folded Spill
	;; [unrolled: 1-line block ×3, first 2 shown]
	s_nop 0
	buffer_store_dword v18, off, s[0:3], s33 offset:236 ; 4-byte Folded Spill
	s_trap 2
	ds_read_b64 v[2:3], v0
	buffer_load_dword v0, off, s[0:3], s33 offset:284 ; 4-byte Folded Reload
	v_mov_b32_e32 v7, v51
	v_mov_b32_e32 v4, v56
	;; [unrolled: 1-line block ×7, first 2 shown]
	s_mov_b64 s[76:77], 0
	s_waitcnt vmcnt(0)
	v_add_co_u32_e32 v50, vcc, v28, v0
	v_addc_co_u32_e32 v51, vcc, 0, v29, vcc
	s_waitcnt lgkmcnt(0)
	v_add_co_u32_e32 v46, vcc, v2, v0
	v_addc_co_u32_e32 v47, vcc, 0, v3, vcc
	v_add_co_u32_e32 v56, vcc, v30, v0
	v_addc_co_u32_e32 v57, vcc, 0, v31, vcc
.LBB6_353:                              ;   Parent Loop BB6_47 Depth=1
                                        ;     Parent Loop BB6_269 Depth=2
                                        ;       Parent Loop BB6_272 Depth=3
                                        ; =>      This Inner Loop Header: Depth=4
	global_load_dwordx4 v[16:19], v[50:51], off glc slc
	global_load_dwordx4 v[20:23], v[50:51], off offset:1024 glc slc
	global_load_dwordx4 v[32:35], v[50:51], off offset:2048 glc slc
	;; [unrolled: 1-line block ×3, first 2 shown]
	global_load_dwordx4 v[52:55], v[46:47], off glc slc
	global_load_dwordx4 v[36:39], v[46:47], off offset:1024 glc slc
	global_load_dwordx4 v[24:27], v[46:47], off offset:2048 glc slc
	;; [unrolled: 1-line block ×3, first 2 shown]
	s_waitcnt vmcnt(7)
	v_and_b32_e32 v0, 0xff00ff, v16
	s_waitcnt vmcnt(3)
	v_and_b32_e32 v2, 0xff00ff, v52
	v_add_u32_e32 v0, v2, v0
	v_and_b32_e32 v2, 0xff00ff00, v16
	v_and_b32_e32 v3, 0xff00ff00, v52
	v_add_u32_e32 v2, v3, v2
	v_perm_b32 v16, v2, v0, s64
	v_and_b32_e32 v0, 0xff00ff, v17
	v_and_b32_e32 v2, 0xff00ff, v53
	v_add_u32_e32 v0, v2, v0
	v_and_b32_e32 v2, 0xff00ff00, v17
	v_and_b32_e32 v3, 0xff00ff00, v53
	v_add_u32_e32 v2, v3, v2
	v_perm_b32 v17, v2, v0, s64
	v_and_b32_e32 v0, 0xff00ff, v18
	;; [unrolled: 7-line block ×4, first 2 shown]
	s_waitcnt vmcnt(2)
	v_and_b32_e32 v2, 0xff00ff, v36
	v_add_u32_e32 v0, v2, v0
	v_and_b32_e32 v2, 0xff00ff00, v20
	v_and_b32_e32 v3, 0xff00ff00, v36
	v_add_u32_e32 v2, v3, v2
	v_perm_b32 v20, v2, v0, s64
	v_and_b32_e32 v0, 0xff00ff, v21
	v_and_b32_e32 v2, 0xff00ff, v37
	v_add_u32_e32 v0, v2, v0
	v_and_b32_e32 v2, 0xff00ff00, v21
	v_and_b32_e32 v3, 0xff00ff00, v37
	v_add_u32_e32 v2, v3, v2
	v_perm_b32 v21, v2, v0, s64
	v_and_b32_e32 v0, 0xff00ff, v22
	;; [unrolled: 7-line block ×4, first 2 shown]
	s_waitcnt vmcnt(1)
	v_and_b32_e32 v2, 0xff00ff, v24
	buffer_load_dword v53, off, s[0:3], s33 offset:56 ; 4-byte Folded Reload
	v_add_u32_e32 v0, v2, v0
	v_and_b32_e32 v2, 0xff00ff00, v32
	buffer_load_dword v32, off, s[0:3], s33 offset:108 ; 4-byte Folded Reload
	v_and_b32_e32 v3, 0xff00ff00, v24
	v_add_u32_e32 v2, v3, v2
	v_perm_b32 v24, v2, v0, s64
	v_and_b32_e32 v0, 0xff00ff, v33
	v_and_b32_e32 v2, 0xff00ff, v25
	v_add_u32_e32 v0, v2, v0
	v_and_b32_e32 v2, 0xff00ff00, v33
	v_and_b32_e32 v3, 0xff00ff00, v25
	v_add_u32_e32 v2, v3, v2
	v_perm_b32 v25, v2, v0, s64
	v_and_b32_e32 v0, 0xff00ff, v34
	v_and_b32_e32 v2, 0xff00ff, v26
	v_add_u32_e32 v0, v2, v0
	v_and_b32_e32 v2, 0xff00ff00, v34
	;; [unrolled: 7-line block ×3, first 2 shown]
	v_and_b32_e32 v3, 0xff00ff00, v27
	v_add_u32_e32 v2, v3, v2
	v_perm_b32 v27, v2, v0, s64
	v_and_b32_e32 v0, 0xff00ff, v12
	s_waitcnt vmcnt(2)
	v_and_b32_e32 v2, 0xff00ff, v8
	v_add_u32_e32 v0, v2, v0
	v_and_b32_e32 v2, 0xff00ff00, v12
	v_and_b32_e32 v3, 0xff00ff00, v8
	v_add_u32_e32 v2, v3, v2
	v_perm_b32 v8, v2, v0, s64
	v_and_b32_e32 v0, 0xff00ff, v13
	v_and_b32_e32 v2, 0xff00ff, v9
	v_add_u32_e32 v0, v2, v0
	v_and_b32_e32 v2, 0xff00ff00, v13
	v_and_b32_e32 v3, 0xff00ff00, v9
	v_add_u32_e32 v2, v3, v2
	v_perm_b32 v9, v2, v0, s64
	v_and_b32_e32 v0, 0xff00ff, v14
	;; [unrolled: 7-line block ×3, first 2 shown]
	v_and_b32_e32 v2, 0xff00ff, v11
	v_add_u32_e32 v0, v2, v0
	v_and_b32_e32 v2, 0xff00ff00, v15
	v_and_b32_e32 v3, 0xff00ff00, v11
	v_add_u32_e32 v2, v3, v2
	v_perm_b32 v11, v2, v0, s64
	global_store_dwordx4 v[56:57], v[16:19], off glc slc
	global_store_dwordx4 v[56:57], v[20:23], off offset:1024 glc slc
	global_store_dwordx4 v[56:57], v[24:27], off offset:2048 glc slc
	;; [unrolled: 1-line block ×3, first 2 shown]
	s_waitcnt vmcnt(5)
	v_sub_u32_e32 v6, v6, v53
	s_waitcnt vmcnt(4)
	v_add_co_u32_e32 v50, vcc, v50, v32
	v_addc_co_u32_e32 v51, vcc, 0, v51, vcc
	v_add_co_u32_e32 v46, vcc, v46, v32
	v_addc_co_u32_e32 v47, vcc, 0, v47, vcc
	;; [unrolled: 2-line block ×3, first 2 shown]
	v_cmp_gt_i32_e32 vcc, 1, v6
	s_or_b64 s[76:77], vcc, s[76:77]
	s_andn2_b64 exec, exec, s[76:77]
	s_cbranch_execnz .LBB6_353
; %bb.354:                              ;   in Loop: Header=BB6_272 Depth=3
	s_or_b64 exec, exec, s[76:77]
	buffer_load_dword v39, off, s[0:3], s33 offset:204 ; 4-byte Folded Reload
	buffer_load_dword v50, off, s[0:3], s33 offset:208 ; 4-byte Folded Reload
	;; [unrolled: 1-line block ×12, first 2 shown]
	v_mov_b32_e32 v51, v7
	buffer_load_dword v22, off, s[0:3], s33 offset:168 ; 4-byte Folded Reload
	buffer_load_dword v23, off, s[0:3], s33 offset:172 ; 4-byte Folded Reload
	;; [unrolled: 1-line block ×6, first 2 shown]
	v_mov_b32_e32 v57, v5
	v_mov_b32_e32 v37, v60
	v_mov_b32_e32 v15, v58
	v_mov_b32_e32 v56, v4
	v_mov_b32_e32 v38, v61
	v_mov_b32_e32 v54, 1
	v_mov_b32_e32 v26, 0xc8
	v_mov_b32_e32 v24, 0x90
	v_mov_b32_e32 v16, v59
.LBB6_355:                              ;   in Loop: Header=BB6_272 Depth=3
	s_or_b64 exec, exec, s[28:29]
	v_lshlrev_b32_e32 v14, 12, v1
	s_waitcnt vmcnt(0)
	v_cmp_ne_u32_e32 vcc, v52, v14
	s_mov_b64 s[78:79], 0
	v_mov_b32_e32 v4, 0
                                        ; implicit-def: $vgpr3
                                        ; implicit-def: $vgpr2
	s_and_saveexec_b64 s[76:77], vcc
	s_cbranch_execz .LBB6_361
; %bb.356:                              ;   in Loop: Header=BB6_272 Depth=3
	buffer_load_dword v1, off, s[0:3], s33 offset:340 ; 4-byte Folded Reload
	v_lshlrev_b32_e32 v0, 6, v6
	v_sub_u32_e32 v2, v52, v14
	v_mov_b32_e32 v47, v16
	v_mov_b32_e32 v46, v15
	s_waitcnt vmcnt(0)
	v_sub_u32_e32 v0, v1, v0
	v_ashrrev_i32_e32 v1, 31, v0
	v_lshrrev_b32_e32 v1, 26, v1
	v_add_u32_e32 v1, v0, v1
	v_ashrrev_i32_e32 v6, 6, v1
	v_and_b32_e32 v1, 0xffffffc0, v1
	v_sub_u32_e32 v5, v0, v1
	v_ashrrev_i32_e32 v1, 31, v2
	v_lshrrev_b32_e32 v1, 22, v1
	v_add_u32_e32 v1, v2, v1
	v_ashrrev_i32_e32 v8, 10, v1
	v_and_b32_e32 v1, 0xfffffc00, v1
	v_lshlrev_b32_e32 v0, 4, v5
	v_sub_u32_e32 v3, v2, v1
	v_lshl_add_u32 v0, v6, 10, v0
	v_cmp_lt_i32_e32 vcc, 15, v3
	v_sub_u32_e32 v15, v2, v0
	v_addc_co_u32_e64 v2, s[28:29], 0, v8, vcc
	v_sub_u32_e32 v6, v2, v6
	v_cmp_lt_i32_e64 s[28:29], 15, v15
	s_and_saveexec_b64 s[78:79], s[28:29]
	s_cbranch_execz .LBB6_360
; %bb.357:                              ;   in Loop: Header=BB6_272 Depth=3
	v_add_u32_e32 v0, v0, v14
	s_trap 2
	ds_read_b64 v[10:11], v0
	v_ashrrev_i32_e32 v2, 31, v0
	v_add_co_u32_e64 v8, s[28:29], v0, v28
	v_addc_co_u32_e64 v9, s[28:29], v2, v29, s[28:29]
	s_waitcnt lgkmcnt(0)
	v_add_co_u32_e64 v10, s[28:29], v10, v0
	v_addc_co_u32_e64 v11, s[28:29], v11, v2, s[28:29]
	v_add_co_u32_e64 v12, s[28:29], v0, v30
	v_mov_b32_e32 v4, v17
	v_addc_co_u32_e64 v13, s[28:29], v2, v31, s[28:29]
	s_mov_b64 s[88:89], 0
.LBB6_358:                              ;   Parent Loop BB6_47 Depth=1
                                        ;     Parent Loop BB6_269 Depth=2
                                        ;       Parent Loop BB6_272 Depth=3
                                        ; =>      This Inner Loop Header: Depth=4
	global_load_dwordx4 v[16:19], v[8:9], off glc slc
	global_load_dwordx4 v[20:23], v[10:11], off glc slc
	v_add_co_u32_e64 v8, s[28:29], v8, v32
	v_addc_co_u32_e64 v9, s[28:29], 0, v9, s[28:29]
	v_add_co_u32_e64 v10, s[28:29], v10, v32
	v_addc_co_u32_e64 v11, s[28:29], 0, v11, s[28:29]
	v_sub_u32_e32 v15, v15, v32
	v_sub_u32_e32 v6, v6, v53
	s_waitcnt vmcnt(1)
	v_and_b32_e32 v26, 0xff00ff, v16
	s_waitcnt vmcnt(0)
	v_and_b32_e32 v0, 0xff00ff, v20
	v_and_b32_e32 v2, 0xff00ff00, v20
	;; [unrolled: 1-line block ×3, first 2 shown]
	v_add_u32_e32 v0, v0, v26
	v_add_u32_e32 v2, v2, v16
	v_and_b32_e32 v20, 0xff00ff, v21
	v_and_b32_e32 v21, 0xff00ff00, v21
	v_perm_b32 v16, v2, v0, s64
	v_and_b32_e32 v0, 0xff00ff, v17
	v_and_b32_e32 v2, 0xff00ff00, v17
	v_add_u32_e32 v0, v20, v0
	v_add_u32_e32 v2, v21, v2
	v_and_b32_e32 v24, 0xff00ff, v22
	v_and_b32_e32 v22, 0xff00ff00, v22
	v_perm_b32 v17, v2, v0, s64
	v_and_b32_e32 v0, 0xff00ff, v18
	v_and_b32_e32 v2, 0xff00ff00, v18
	;; [unrolled: 7-line block ×3, first 2 shown]
	v_add_u32_e32 v0, v25, v0
	v_add_u32_e32 v2, v23, v2
	v_perm_b32 v19, v2, v0, s64
	global_store_dwordx4 v[12:13], v[16:19], off glc slc
	v_add_co_u32_e64 v12, s[28:29], v12, v32
	v_addc_co_u32_e64 v13, s[28:29], 0, v13, s[28:29]
	v_cmp_gt_i32_e64 s[28:29], 16, v15
	s_or_b64 s[88:89], s[28:29], s[88:89]
	s_andn2_b64 exec, exec, s[88:89]
	s_cbranch_execnz .LBB6_358
; %bb.359:                              ;   in Loop: Header=BB6_272 Depth=3
	s_or_b64 exec, exec, s[88:89]
	buffer_load_dword v20, off, s[0:3], s33 offset:252 ; 4-byte Folded Reload
	buffer_load_dword v21, off, s[0:3], s33 offset:256 ; 4-byte Folded Reload
	;; [unrolled: 1-line block ×5, first 2 shown]
	v_mov_b32_e32 v26, 0xc8
	v_mov_b32_e32 v24, 0x90
	;; [unrolled: 1-line block ×3, first 2 shown]
.LBB6_360:                              ;   in Loop: Header=BB6_272 Depth=3
	s_or_b64 exec, exec, s[78:79]
	v_and_b32_e32 v0, 15, v52
	v_sub_u32_e32 v2, v3, v0
	v_cndmask_b32_e32 v2, 0, v2, vcc
	v_cndmask_b32_e32 v3, v3, v0, vcc
	v_cmp_lt_i32_e32 vcc, 0, v6
	v_cndmask_b32_e32 v0, 0, v53, vcc
	v_sub_u32_e32 v0, v0, v6
	v_cmp_ne_u32_e32 vcc, 0, v3
	v_mov_b32_e32 v15, v46
	v_add3_u32 v4, v1, v14, v2
	v_lshl_add_u32 v2, v0, 6, v5
	s_and_b64 s[78:79], vcc, exec
	v_mov_b32_e32 v16, v47
.LBB6_361:                              ;   in Loop: Header=BB6_272 Depth=3
	s_or_b64 exec, exec, s[76:77]
	buffer_load_dword v5, off, s[0:3], s33 offset:276 ; 4-byte Folded Reload
	buffer_load_dword v6, off, s[0:3], s33 offset:280 ; 4-byte Folded Reload
	s_and_saveexec_b64 s[28:29], s[78:79]
	s_cbranch_execz .LBB6_370
.LBB6_362:                              ;   in Loop: Header=BB6_272 Depth=3
	s_waitcnt vmcnt(0)
	v_ashrrev_i32_e32 v0, 31, v2
	v_ashrrev_i32_e32 v1, 31, v3
	v_lshrrev_b32_e32 v0, 26, v0
	v_lshrrev_b32_e32 v1, 21, v1
	v_add_u32_e32 v0, v2, v0
	v_add_u32_e32 v1, v3, v1
	v_ashrrev_i32_e32 v8, 6, v0
	v_ashrrev_i32_e32 v1, 11, v1
	v_sub_u32_e32 v14, v1, v8
	v_cmp_lt_i32_e32 vcc, 0, v14
	s_and_saveexec_b64 s[76:77], vcc
	s_cbranch_execz .LBB6_366
; %bb.363:                              ;   in Loop: Header=BB6_272 Depth=3
	v_and_b32_e32 v0, 0xffffffc0, v0
	buffer_store_dword v1, off, s[0:3], s33 offset:332 ; 4-byte Folded Spill
	buffer_store_dword v3, off, s[0:3], s33 offset:316 ; 4-byte Folded Spill
	;; [unrolled: 1-line block ×5, first 2 shown]
	s_nop 0
	buffer_store_dword v18, off, s[0:3], s33 offset:236 ; 4-byte Folded Spill
	buffer_store_dword v15, off, s[0:3], s33 offset:136 ; 4-byte Folded Spill
	s_nop 0
	buffer_store_dword v16, off, s[0:3], s33 offset:140 ; 4-byte Folded Spill
	buffer_store_dword v51, off, s[0:3], s33 offset:304 ; 4-byte Folded Spill
	;; [unrolled: 3-line block ×5, first 2 shown]
	v_sub_u32_e32 v0, v2, v0
	v_lshlrev_b32_e32 v1, 11, v8
	buffer_store_dword v2, off, s[0:3], s33 offset:324 ; 4-byte Folded Spill
	buffer_store_dword v8, off, s[0:3], s33 offset:328 ; 4-byte Folded Spill
	buffer_store_dword v4, off, s[0:3], s33 offset:312 ; 4-byte Folded Spill
	v_add3_u32 v2, v4, v0, v1
	s_trap 2
	ds_read_b64 v[0:1], v0
	v_ashrrev_i32_e32 v6, 31, v2
	v_add_co_u32_e32 v8, vcc, v2, v28
	v_addc_co_u32_e32 v9, vcc, v6, v29, vcc
	s_waitcnt lgkmcnt(0)
	v_add_co_u32_e32 v10, vcc, v0, v2
	v_addc_co_u32_e32 v11, vcc, v1, v6, vcc
	v_add_co_u32_e32 v0, vcc, 0x7c0, v30
	v_addc_co_u32_e32 v1, vcc, 0, v31, vcc
	;; [unrolled: 2-line block ×3, first 2 shown]
	s_mov_b64 s[78:79], 0
.LBB6_364:                              ;   Parent Loop BB6_47 Depth=1
                                        ;     Parent Loop BB6_269 Depth=2
                                        ;       Parent Loop BB6_272 Depth=3
                                        ; =>      This Inner Loop Header: Depth=4
	buffer_store_dword v14, off, s[0:3], s33 offset:60 ; 4-byte Folded Spill
	flat_load_ubyte v22, v[8:9] glc slc
	flat_load_ubyte v0, v[8:9] offset:64 glc slc
	s_waitcnt vmcnt(0) lgkmcnt(0)
	buffer_store_dword v0, off, s[0:3], s33 offset:68 ; 4-byte Folded Spill
	flat_load_ubyte v0, v[8:9] offset:128 glc slc
	s_waitcnt vmcnt(0) lgkmcnt(0)
	buffer_store_dword v0, off, s[0:3], s33 offset:76 ; 4-byte Folded Spill
	;; [unrolled: 3-line block ×3, first 2 shown]
	flat_load_ubyte v55, v[8:9] offset:256 glc slc
	s_nop 0
	flat_load_ubyte v0, v[8:9] offset:320 glc slc
	s_waitcnt vmcnt(0) lgkmcnt(0)
	buffer_store_dword v0, off, s[0:3], s33 offset:88 ; 4-byte Folded Spill
	flat_load_ubyte v0, v[8:9] offset:384 glc slc
	s_waitcnt vmcnt(0) lgkmcnt(0)
	buffer_store_dword v0, off, s[0:3], s33 offset:92 ; 4-byte Folded Spill
	flat_load_ubyte v23, v[8:9] offset:448 glc slc
	flat_load_ubyte v24, v[8:9] offset:512 glc slc
	flat_load_ubyte v25, v[8:9] offset:576 glc slc
	flat_load_ubyte v26, v[8:9] offset:640 glc slc
	flat_load_ubyte v27, v[8:9] offset:704 glc slc
	flat_load_ubyte v30, v[8:9] offset:768 glc slc
	flat_load_ubyte v31, v[8:9] offset:832 glc slc
	flat_load_ubyte v32, v[8:9] offset:896 glc slc
	flat_load_ubyte v33, v[8:9] offset:960 glc slc
	flat_load_ubyte v40, v[8:9] offset:1024 glc slc
	flat_load_ubyte v41, v[8:9] offset:1088 glc slc
	flat_load_ubyte v46, v[8:9] offset:1152 glc slc
	flat_load_ubyte v47, v[8:9] offset:1216 glc slc
	flat_load_ubyte v56, v[8:9] offset:1280 glc slc
	flat_load_ubyte v57, v[8:9] offset:1344 glc slc
	flat_load_ubyte v28, v[8:9] offset:1408 glc slc
	flat_load_ubyte v29, v[8:9] offset:1472 glc slc
	flat_load_ubyte v0, v[8:9] offset:1536 glc slc
	s_waitcnt vmcnt(0) lgkmcnt(0)
	buffer_store_dword v0, off, s[0:3], s33 offset:96 ; 4-byte Folded Spill
	flat_load_ubyte v60, v[8:9] offset:1600 glc slc
	flat_load_ubyte v61, v[8:9] offset:1664 glc slc
	;; [unrolled: 1-line block ×4, first 2 shown]
	s_nop 0
	flat_load_ubyte v0, v[8:9] offset:1856 glc slc
	s_waitcnt vmcnt(0) lgkmcnt(0)
	buffer_store_dword v0, off, s[0:3], s33 offset:100 ; 4-byte Folded Spill
	flat_load_ubyte v0, v[8:9] offset:1920 glc slc
	s_waitcnt vmcnt(0) lgkmcnt(0)
	buffer_store_dword v0, off, s[0:3], s33 offset:104 ; 4-byte Folded Spill
	flat_load_ubyte v58, v[8:9] offset:1984 glc slc
	flat_load_ubyte v52, v[10:11] glc slc
	flat_load_ubyte v59, v[10:11] offset:64 glc slc
	flat_load_ubyte v34, v[10:11] offset:128 glc slc
	;; [unrolled: 1-line block ×31, first 2 shown]
	s_waitcnt vmcnt(0) lgkmcnt(0)
	v_add_u16_e32 v52, v52, v22
	buffer_load_dword v22, off, s[0:3], s33 offset:68 ; 4-byte Folded Reload
	v_add_u16_e32 v55, v36, v55
	v_add_u16_e32 v23, v39, v23
	;; [unrolled: 1-line block ×11, first 2 shown]
	buffer_load_dword v0, off, s[0:3], s33 offset:96 ; 4-byte Folded Reload
	v_add_co_u32_e32 v28, vcc, s65, v12
	v_add_u16_e32 v14, v6, v60
	v_add_u16_e32 v6, v15, v61
	;; [unrolled: 1-line block ×4, first 2 shown]
	s_waitcnt vmcnt(1)
	v_add_u16_e32 v22, v59, v22
	buffer_load_dword v59, off, s[0:3], s33 offset:76 ; 4-byte Folded Reload
	s_waitcnt vmcnt(1)
	v_add_u16_e32 v49, v2, v0
	buffer_load_dword v0, off, s[0:3], s33 offset:100 ; 4-byte Folded Reload
	;; [unrolled: 3-line block ×5, first 2 shown]
	s_waitcnt vmcnt(1)
	v_add_u16_e32 v2, v19, v0
	s_waitcnt vmcnt(0)
	v_add_u16_e32 v36, v37, v35
	buffer_load_dword v35, off, s[0:3], s33 offset:92 ; 4-byte Folded Reload
	v_add_u16_e32 v37, v44, v30
	v_add_u16_e32 v44, v45, v31
	;; [unrolled: 1-line block ×4, first 2 shown]
	v_addc_co_u32_e32 v29, vcc, -1, v13, vcc
	flat_store_byte v[28:29], v52 glc slc
	v_add_co_u32_e32 v28, vcc, s66, v12
	v_addc_co_u32_e32 v29, vcc, -1, v13, vcc
	flat_store_byte v[28:29], v22 glc slc
	v_add_co_u32_e32 v28, vcc, s67, v12
	;; [unrolled: 3-line block ×3, first 2 shown]
	v_addc_co_u32_e32 v29, vcc, -1, v13, vcc
	v_add_co_u32_e32 v0, vcc, s69, v12
	v_addc_co_u32_e32 v1, vcc, -1, v13, vcc
	flat_store_byte v[28:29], v34 glc slc
	flat_store_byte v[0:1], v55 glc slc
	v_add_co_u32_e32 v0, vcc, s70, v12
	v_addc_co_u32_e32 v1, vcc, -1, v13, vcc
	flat_store_byte v[0:1], v36 glc slc
	v_add_co_u32_e32 v0, vcc, s71, v12
	v_addc_co_u32_e32 v1, vcc, -1, v13, vcc
	v_add_u16_e32 v30, v51, v47
	s_waitcnt vmcnt(0)
	v_add_u16_e32 v35, v38, v35
	flat_store_byte v[0:1], v35 glc slc
	v_add_co_u32_e32 v0, vcc, s80, v12
	v_addc_co_u32_e32 v1, vcc, -1, v13, vcc
	flat_store_byte v[0:1], v23 glc slc
	v_add_co_u32_e32 v0, vcc, s81, v12
	v_addc_co_u32_e32 v1, vcc, -1, v13, vcc
	;; [unrolled: 3-line block ×4, first 2 shown]
	flat_store_byte v[0:1], v39 glc slc
	v_add_co_u32_e32 v0, vcc, s84, v12
	v_add_u16_e32 v38, v3, v27
	v_addc_co_u32_e32 v1, vcc, -1, v13, vcc
	flat_store_byte v[0:1], v38 glc slc
	v_add_co_u32_e32 v0, vcc, s44, v12
	v_addc_co_u32_e32 v1, vcc, -1, v13, vcc
	flat_store_byte v[0:1], v37 glc slc
	v_add_co_u32_e32 v0, vcc, s45, v12
	v_addc_co_u32_e32 v1, vcc, -1, v13, vcc
	flat_store_byte v[0:1], v44 glc slc
	v_add_co_u32_e32 v0, vcc, s85, v12
	v_addc_co_u32_e32 v1, vcc, -1, v13, vcc
	flat_store_byte v[0:1], v53 glc slc
	v_add_co_u32_e32 v0, vcc, s52, v12
	v_addc_co_u32_e32 v1, vcc, -1, v13, vcc
	flat_store_byte v[0:1], v7 glc slc
	v_add_co_u32_e32 v0, vcc, s9, v12
	v_addc_co_u32_e32 v1, vcc, -1, v13, vcc
	flat_store_byte v[0:1], v33 glc slc
	v_add_co_u32_e32 v0, vcc, s8, v12
	v_addc_co_u32_e32 v1, vcc, -1, v13, vcc
	flat_store_byte v[0:1], v32 glc slc
	v_add_co_u32_e32 v0, vcc, s86, v12
	v_addc_co_u32_e32 v1, vcc, -1, v13, vcc
	flat_store_byte v[0:1], v31 glc slc
	v_add_co_u32_e32 v0, vcc, s97, v12
	v_addc_co_u32_e32 v1, vcc, -1, v13, vcc
	flat_store_byte v[0:1], v30 glc slc
	v_add_co_u32_e32 v0, vcc, s47, v12
	v_add_u16_e32 v27, v54, v56
	v_addc_co_u32_e32 v1, vcc, -1, v13, vcc
	flat_store_byte v[0:1], v27 glc slc
	v_add_co_u32_e32 v0, vcc, s60, v12
	v_addc_co_u32_e32 v1, vcc, -1, v13, vcc
	flat_store_byte v[0:1], v26 glc slc
	v_add_co_u32_e32 v0, vcc, s61, v12
	v_addc_co_u32_e32 v1, vcc, -1, v13, vcc
	flat_store_byte v[0:1], v25 glc slc
	v_add_co_u32_e32 v0, vcc, s51, v12
	buffer_load_dword v33, off, s[0:3], s33 offset:112 ; 4-byte Folded Reload
	buffer_load_dword v53, off, s[0:3], s33 offset:56 ; 4-byte Folded Reload
	v_addc_co_u32_e32 v1, vcc, -1, v13, vcc
	flat_store_byte v[0:1], v50 glc slc
	v_add_co_u32_e32 v0, vcc, s96, v12
	v_addc_co_u32_e32 v1, vcc, -1, v13, vcc
	flat_store_byte v[0:1], v49 glc slc
	v_add_co_u32_e32 v0, vcc, s46, v12
	v_addc_co_u32_e32 v1, vcc, -1, v13, vcc
	flat_store_byte v[0:1], v14 glc slc
	buffer_load_dword v14, off, s[0:3], s33 offset:60 ; 4-byte Folded Reload
	v_add_co_u32_e32 v0, vcc, s58, v12
	v_addc_co_u32_e32 v1, vcc, -1, v13, vcc
	flat_store_byte v[0:1], v6 glc slc
	v_add_co_u32_e32 v0, vcc, s59, v12
	v_addc_co_u32_e32 v1, vcc, -1, v13, vcc
	flat_store_byte v[0:1], v20 glc slc
	v_add_co_u32_e32 v0, vcc, s14, v12
	v_addc_co_u32_e32 v1, vcc, -1, v13, vcc
	flat_store_byte v[0:1], v5 glc slc
	v_add_co_u32_e32 v0, vcc, s15, v12
	v_addc_co_u32_e32 v1, vcc, -1, v13, vcc
	flat_store_byte v[0:1], v4 glc slc
	v_add_co_u32_e32 v0, vcc, s54, v12
	v_addc_co_u32_e32 v1, vcc, -1, v13, vcc
	v_add_u16_e32 v3, v21, v58
	flat_store_byte v[0:1], v2 glc slc
	flat_store_byte v[12:13], v3 glc slc
	s_waitcnt vmcnt(0)
	v_add_co_u32_e32 v8, vcc, v8, v33
	v_addc_co_u32_e32 v9, vcc, 0, v9, vcc
	v_add_co_u32_e32 v10, vcc, v10, v33
	v_addc_co_u32_e32 v11, vcc, 0, v11, vcc
	;; [unrolled: 2-line block ×3, first 2 shown]
	v_sub_u32_e32 v14, v14, v53
	v_cmp_gt_i32_e32 vcc, 1, v14
	s_or_b64 s[78:79], vcc, s[78:79]
	s_andn2_b64 exec, exec, s[78:79]
	s_cbranch_execnz .LBB6_364
; %bb.365:                              ;   in Loop: Header=BB6_272 Depth=3
	s_or_b64 exec, exec, s[78:79]
	buffer_load_dword v45, off, s[0:3], s33 offset:296 ; 4-byte Folded Reload
	buffer_load_dword v42, off, s[0:3], s33 offset:288 ; 4-byte Folded Reload
	buffer_load_dword v43, off, s[0:3], s33 offset:292 ; 4-byte Folded Reload
	buffer_load_dword v48, off, s[0:3], s33 offset:260 ; 4-byte Folded Reload
	buffer_load_dword v49, off, s[0:3], s33 offset:264 ; 4-byte Folded Reload
	buffer_load_dword v40, off, s[0:3], s33 offset:268 ; 4-byte Folded Reload
	buffer_load_dword v41, off, s[0:3], s33 offset:272 ; 4-byte Folded Reload
	buffer_load_dword v56, off, s[0:3], s33 offset:212 ; 4-byte Folded Reload
	buffer_load_dword v57, off, s[0:3], s33 offset:216 ; 4-byte Folded Reload
	buffer_load_dword v37, off, s[0:3], s33 offset:220 ; 4-byte Folded Reload
	buffer_load_dword v38, off, s[0:3], s33 offset:224 ; 4-byte Folded Reload
	buffer_load_dword v51, off, s[0:3], s33 offset:304 ; 4-byte Folded Reload
	buffer_load_dword v52, off, s[0:3], s33 offset:308 ; 4-byte Folded Reload
	buffer_load_dword v39, off, s[0:3], s33 offset:204 ; 4-byte Folded Reload
	buffer_load_dword v50, off, s[0:3], s33 offset:208 ; 4-byte Folded Reload
	buffer_load_dword v20, off, s[0:3], s33 offset:252 ; 4-byte Folded Reload
	buffer_load_dword v21, off, s[0:3], s33 offset:256 ; 4-byte Folded Reload
	buffer_load_dword v55, off, s[0:3], s33 offset:248 ; 4-byte Folded Reload
	buffer_load_dword v32, off, s[0:3], s33 offset:192 ; 4-byte Folded Reload
	buffer_load_dword v34, off, s[0:3], s33 offset:196 ; 4-byte Folded Reload
	buffer_load_dword v35, off, s[0:3], s33 offset:200 ; 4-byte Folded Reload
	buffer_load_dword v36, off, s[0:3], s33 offset:116 ; 4-byte Folded Reload
	buffer_load_dword v27, off, s[0:3], s33 offset:188 ; 4-byte Folded Reload
	buffer_load_dword v25, off, s[0:3], s33 offset:184 ; 4-byte Folded Reload
	buffer_load_dword v22, off, s[0:3], s33 offset:168 ; 4-byte Folded Reload
	buffer_load_dword v23, off, s[0:3], s33 offset:172 ; 4-byte Folded Reload
	buffer_load_dword v15, off, s[0:3], s33 offset:136 ; 4-byte Folded Reload
	buffer_load_dword v16, off, s[0:3], s33 offset:140 ; 4-byte Folded Reload
	buffer_load_dword v44, off, s[0:3], s33 offset:360 ; 4-byte Folded Reload
	buffer_load_dword v17, off, s[0:3], s33 offset:232 ; 4-byte Folded Reload
	buffer_load_dword v18, off, s[0:3], s33 offset:236 ; 4-byte Folded Reload
	buffer_load_dword v7, off, s[0:3], s33 offset:240 ; 4-byte Folded Reload
	buffer_load_dword v5, off, s[0:3], s33 offset:276 ; 4-byte Folded Reload
	buffer_load_dword v6, off, s[0:3], s33 offset:280 ; 4-byte Folded Reload
	buffer_load_dword v52, off, s[0:3], s33 offset:244 ; 4-byte Folded Reload
	buffer_load_dword v4, off, s[0:3], s33 offset:312 ; 4-byte Folded Reload
	buffer_load_dword v3, off, s[0:3], s33 offset:316 ; 4-byte Folded Reload
	buffer_load_dword v2, off, s[0:3], s33 offset:324 ; 4-byte Folded Reload
	buffer_load_dword v8, off, s[0:3], s33 offset:328 ; 4-byte Folded Reload
	buffer_load_dword v1, off, s[0:3], s33 offset:332 ; 4-byte Folded Reload
	v_mov_b32_e32 v54, 1
	v_mov_b32_e32 v26, 0xc8
	;; [unrolled: 1-line block ×3, first 2 shown]
.LBB6_366:                              ;   in Loop: Header=BB6_272 Depth=3
	s_or_b64 exec, exec, s[76:77]
	s_waitcnt vmcnt(0)
	v_lshlrev_b32_e32 v0, 11, v1
	v_cmp_ne_u32_e32 vcc, v3, v0
	s_and_b64 exec, exec, vcc
	s_cbranch_execz .LBB6_370
; %bb.367:                              ;   in Loop: Header=BB6_272 Depth=3
	v_lshlrev_b32_e32 v1, 6, v8
	v_sub_u32_e32 v1, v2, v1
	v_lshlrev_b32_e32 v2, 6, v14
	v_sub_u32_e32 v1, v1, v2
	v_add_u32_e32 v1, v0, v1
	v_sub_u32_e32 v0, v3, v1
	v_cmp_lt_i32_e32 vcc, 0, v0
	s_and_b64 exec, exec, vcc
	s_cbranch_execz .LBB6_370
; %bb.368:                              ;   in Loop: Header=BB6_272 Depth=3
	s_trap 2
	ds_read_b128 v[8:11], v0
	v_add_u32_e32 v3, v1, v4
	ds_read_b64 v[1:2], v0
	v_ashrrev_i32_e32 v4, 31, v3
	s_mov_b64 s[76:77], 0
	s_waitcnt lgkmcnt(0)
	v_add_co_u32_e32 v8, vcc, v8, v3
	v_addc_co_u32_e32 v9, vcc, v9, v4, vcc
	v_add_co_u32_e32 v10, vcc, v10, v3
	v_addc_co_u32_e32 v11, vcc, v11, v4, vcc
	;; [unrolled: 2-line block ×3, first 2 shown]
.LBB6_369:                              ;   Parent Loop BB6_47 Depth=1
                                        ;     Parent Loop BB6_269 Depth=2
                                        ;       Parent Loop BB6_272 Depth=3
                                        ; =>      This Inner Loop Header: Depth=4
	flat_load_ubyte v1, v[8:9] glc slc
	flat_load_ubyte v2, v[10:11] glc slc
	v_add_co_u32_e32 v8, vcc, v8, v50
	v_addc_co_u32_e32 v9, vcc, 0, v9, vcc
	v_add_co_u32_e32 v10, vcc, v10, v50
	v_addc_co_u32_e32 v11, vcc, 0, v11, vcc
	v_sub_u32_e32 v0, v0, v50
	v_cmp_gt_i32_e32 vcc, 1, v0
	s_or_b64 s[76:77], vcc, s[76:77]
	s_waitcnt vmcnt(0) lgkmcnt(0)
	v_add_u16_e32 v1, v2, v1
	flat_store_byte v[12:13], v1 glc slc
	v_add_co_u32_e32 v12, vcc, v12, v50
	v_addc_co_u32_e32 v13, vcc, 0, v13, vcc
	s_andn2_b64 exec, exec, s[76:77]
	s_cbranch_execnz .LBB6_369
.LBB6_370:                              ;   in Loop: Header=BB6_272 Depth=3
	s_or_b64 exec, exec, s[28:29]
	v_cmp_lt_i32_e64 s[28:29], 0, v52
	s_and_saveexec_b64 s[76:77], s[10:11]
	s_cbranch_execz .LBB6_347
.LBB6_371:                              ;   in Loop: Header=BB6_272 Depth=3
	s_and_saveexec_b64 s[78:79], s[56:57]
	s_xor_b64 s[78:79], exec, s[78:79]
	s_cbranch_execz .LBB6_386
; %bb.372:                              ;   in Loop: Header=BB6_272 Depth=3
	s_and_saveexec_b64 s[88:89], s[16:17]
	s_cbranch_execz .LBB6_385
; %bb.373:                              ;   in Loop: Header=BB6_272 Depth=3
	s_mov_b64 s[92:93], exec
	v_mbcnt_lo_u32_b32 v0, s92, 0
	v_mbcnt_hi_u32_b32 v0, s93, v0
	v_cmp_eq_u32_e32 vcc, 0, v0
	s_waitcnt vmcnt(0) lgkmcnt(0)
	buffer_wbinvl1_vol
	s_and_saveexec_b64 s[90:91], vcc
	s_cbranch_execz .LBB6_375
; %bb.374:                              ;   in Loop: Header=BB6_272 Depth=3
	s_bcnt1_i32_b64 s92, s[92:93]
	v_mov_b32_e32 v0, s92
	v_mov_b32_e32 v1, v51
	ds_add_u64 v0, v[0:1]
	s_trap 2
.LBB6_375:                              ;   in Loop: Header=BB6_272 Depth=3
	s_or_b64 exec, exec, s[90:91]
	s_trap 2
	ds_read_b64 v[0:1], v0
	s_waitcnt lgkmcnt(0)
	v_add_co_u32_e32 v56, vcc, v56, v53
	v_addc_co_u32_e32 v57, vcc, 0, v57, vcc
	v_cmp_lt_u64_e32 vcc, v[0:1], v[56:57]
	s_and_saveexec_b64 s[90:91], vcc
	s_cbranch_execz .LBB6_384
; %bb.376:                              ;   in Loop: Header=BB6_272 Depth=3
	s_mov_b32 s38, 0
	s_mov_b64 s[92:93], 0
                                        ; implicit-def: $sgpr94_sgpr95
                                        ; implicit-def: $sgpr30_sgpr31
	s_branch .LBB6_378
.LBB6_377:                              ;   in Loop: Header=BB6_378 Depth=4
	s_or_b64 exec, exec, s[36:37]
	s_and_b64 vcc, exec, vcc
	s_or_b64 s[92:93], vcc, s[92:93]
	s_andn2_b64 s[94:95], s[94:95], exec
	s_and_b64 vcc, s[30:31], exec
	s_or_b64 s[94:95], s[94:95], vcc
	s_andn2_b64 exec, exec, s[92:93]
	s_cbranch_execz .LBB6_382
.LBB6_378:                              ;   Parent Loop BB6_47 Depth=1
                                        ;     Parent Loop BB6_269 Depth=2
                                        ;       Parent Loop BB6_272 Depth=3
                                        ; =>      This Inner Loop Header: Depth=4
	s_add_i32 s38, s38, 1
	s_cmpk_lg_i32 s38, 0x2710
	s_cselect_b64 s[34:35], -1, 0
	s_and_b64 vcc, exec, s[34:35]
	s_cbranch_vccz .LBB6_380
; %bb.379:                              ;   in Loop: Header=BB6_378 Depth=4
	s_mov_b64 vcc, -1
	s_or_b64 s[30:31], s[30:31], exec
	s_and_saveexec_b64 s[36:37], s[34:35]
	s_cbranch_execz .LBB6_377
	s_branch .LBB6_381
.LBB6_380:                              ;   in Loop: Header=BB6_378 Depth=4
	s_trap 2
	ds_read_b64 v[0:1], v0
	s_andn2_b64 s[34:35], s[34:35], exec
	s_mov_b32 s38, 0
	s_waitcnt lgkmcnt(0)
	flat_load_dword v0, v[0:1] glc
	s_waitcnt vmcnt(0) lgkmcnt(0)
	buffer_wbinvl1_vol
	v_cmp_eq_u32_e32 vcc, 0, v0
	s_and_b64 vcc, vcc, exec
	s_or_b64 s[34:35], s[34:35], vcc
	s_mov_b64 vcc, -1
	s_or_b64 s[30:31], s[30:31], exec
	s_and_saveexec_b64 s[36:37], s[34:35]
	s_cbranch_execz .LBB6_377
.LBB6_381:                              ;   in Loop: Header=BB6_378 Depth=4
	s_sleep 1
	s_trap 2
	ds_read_b64 v[0:1], v0
	s_waitcnt lgkmcnt(0)
	s_andn2_b64 s[30:31], s[30:31], exec
	v_cmp_ge_u64_e32 vcc, v[0:1], v[56:57]
	s_orn2_b64 vcc, vcc, exec
	s_branch .LBB6_377
.LBB6_382:                              ;   in Loop: Header=BB6_272 Depth=3
	s_or_b64 exec, exec, s[92:93]
	s_and_saveexec_b64 s[92:93], s[94:95]
	s_xor_b64 s[92:93], exec, s[92:93]
	s_cbranch_execz .LBB6_384
; %bb.383:                              ;   in Loop: Header=BB6_272 Depth=3
	ds_write_b32 v0, v54
	s_trap 2
.LBB6_384:                              ;   in Loop: Header=BB6_272 Depth=3
	s_or_b64 exec, exec, s[90:91]
	;;#ASMSTART
	s_wakeup
	;;#ASMEND
.LBB6_385:                              ;   in Loop: Header=BB6_272 Depth=3
	s_or_b64 exec, exec, s[88:89]
.LBB6_386:                              ;   in Loop: Header=BB6_272 Depth=3
	s_andn2_saveexec_b64 s[78:79], s[78:79]
	s_cbranch_execz .LBB6_388
; %bb.387:                              ;   in Loop: Header=BB6_272 Depth=3
	s_waitcnt vmcnt(0) lgkmcnt(0)
	buffer_wbinvl1_vol
	s_barrier
.LBB6_388:                              ;   in Loop: Header=BB6_272 Depth=3
	s_or_b64 exec, exec, s[78:79]
	s_or_b64 exec, exec, s[76:77]
                                        ; implicit-def: $vgpr0
	s_and_saveexec_b64 s[76:77], s[24:25]
	s_xor_b64 s[76:77], exec, s[76:77]
	s_cbranch_execnz .LBB6_348
.LBB6_389:                              ;   in Loop: Header=BB6_272 Depth=3
	s_andn2_saveexec_b64 s[28:29], s[76:77]
	s_cbranch_execz .LBB6_408
.LBB6_390:                              ;   in Loop: Header=BB6_272 Depth=3
	s_and_saveexec_b64 s[76:77], s[56:57]
	s_xor_b64 s[76:77], exec, s[76:77]
	s_cbranch_execz .LBB6_405
; %bb.391:                              ;   in Loop: Header=BB6_272 Depth=3
	s_and_saveexec_b64 s[78:79], s[16:17]
	s_cbranch_execz .LBB6_404
; %bb.392:                              ;   in Loop: Header=BB6_272 Depth=3
	s_mov_b64 s[90:91], exec
	v_mbcnt_lo_u32_b32 v0, s90, 0
	v_mbcnt_hi_u32_b32 v0, s91, v0
	v_cmp_eq_u32_e32 vcc, 0, v0
	;;#ASMSTART
	s_waitcnt lgkmcnt(0) vmcnt(0)
	;;#ASMEND
	s_and_saveexec_b64 s[88:89], vcc
	s_cbranch_execz .LBB6_394
; %bb.393:                              ;   in Loop: Header=BB6_272 Depth=3
	s_bcnt1_i32_b64 s90, s[90:91]
	v_mov_b32_e32 v0, s90
	v_mov_b32_e32 v1, v51
	s_waitcnt lgkmcnt(0)
	ds_add_u64 v0, v[0:1]
	s_trap 2
.LBB6_394:                              ;   in Loop: Header=BB6_272 Depth=3
	s_or_b64 exec, exec, s[88:89]
	s_trap 2
	ds_read_b64 v[0:1], v0
	s_waitcnt lgkmcnt(0)
	v_add_co_u32_e32 v56, vcc, v56, v53
	v_addc_co_u32_e32 v57, vcc, 0, v57, vcc
	v_cmp_lt_u64_e32 vcc, v[0:1], v[56:57]
	s_and_saveexec_b64 s[88:89], vcc
	s_cbranch_execz .LBB6_403
; %bb.395:                              ;   in Loop: Header=BB6_272 Depth=3
	s_mov_b32 s36, 0
	s_mov_b64 s[90:91], 0
                                        ; implicit-def: $sgpr92_sgpr93
                                        ; implicit-def: $sgpr94_sgpr95
	s_branch .LBB6_397
.LBB6_396:                              ;   in Loop: Header=BB6_397 Depth=4
	s_or_b64 exec, exec, s[34:35]
	s_and_b64 vcc, exec, vcc
	s_or_b64 s[90:91], vcc, s[90:91]
	s_andn2_b64 s[92:93], s[92:93], exec
	s_and_b64 vcc, s[94:95], exec
	s_or_b64 s[92:93], s[92:93], vcc
	s_andn2_b64 exec, exec, s[90:91]
	s_cbranch_execz .LBB6_401
.LBB6_397:                              ;   Parent Loop BB6_47 Depth=1
                                        ;     Parent Loop BB6_269 Depth=2
                                        ;       Parent Loop BB6_272 Depth=3
                                        ; =>      This Inner Loop Header: Depth=4
	s_add_i32 s36, s36, 1
	s_cmpk_lg_i32 s36, 0x2710
	s_cselect_b64 s[30:31], -1, 0
	s_and_b64 vcc, exec, s[30:31]
	s_cbranch_vccz .LBB6_399
; %bb.398:                              ;   in Loop: Header=BB6_397 Depth=4
	s_mov_b64 vcc, -1
	s_or_b64 s[94:95], s[94:95], exec
	s_and_saveexec_b64 s[34:35], s[30:31]
	s_cbranch_execz .LBB6_396
	s_branch .LBB6_400
.LBB6_399:                              ;   in Loop: Header=BB6_397 Depth=4
	s_trap 2
	ds_read_b64 v[0:1], v0
	s_andn2_b64 s[30:31], s[30:31], exec
	s_mov_b32 s36, 0
	s_waitcnt vmcnt(0) lgkmcnt(0)
	flat_load_dword v0, v[0:1] glc
	s_waitcnt vmcnt(0) lgkmcnt(0)
	buffer_wbinvl1_vol
	v_cmp_eq_u32_e32 vcc, 0, v0
	s_and_b64 vcc, vcc, exec
	s_or_b64 s[30:31], s[30:31], vcc
	s_mov_b64 vcc, -1
	s_or_b64 s[94:95], s[94:95], exec
	s_and_saveexec_b64 s[34:35], s[30:31]
	s_cbranch_execz .LBB6_396
.LBB6_400:                              ;   in Loop: Header=BB6_397 Depth=4
	s_sleep 1
	s_trap 2
	ds_read_b64 v[0:1], v0
	s_waitcnt lgkmcnt(0)
	s_andn2_b64 s[94:95], s[94:95], exec
	v_cmp_ge_u64_e32 vcc, v[0:1], v[56:57]
	s_orn2_b64 vcc, vcc, exec
	s_branch .LBB6_396
.LBB6_401:                              ;   in Loop: Header=BB6_272 Depth=3
	s_or_b64 exec, exec, s[90:91]
	s_and_saveexec_b64 s[90:91], s[92:93]
	s_xor_b64 s[90:91], exec, s[90:91]
	s_cbranch_execz .LBB6_403
; %bb.402:                              ;   in Loop: Header=BB6_272 Depth=3
	ds_write_b32 v0, v54
	s_trap 2
.LBB6_403:                              ;   in Loop: Header=BB6_272 Depth=3
	s_or_b64 exec, exec, s[88:89]
	;;#ASMSTART
	s_wakeup
	;;#ASMEND
.LBB6_404:                              ;   in Loop: Header=BB6_272 Depth=3
	s_or_b64 exec, exec, s[78:79]
.LBB6_405:                              ;   in Loop: Header=BB6_272 Depth=3
	s_andn2_saveexec_b64 s[76:77], s[76:77]
	s_cbranch_execz .LBB6_407
; %bb.406:                              ;   in Loop: Header=BB6_272 Depth=3
	;;#ASMSTART
	s_waitcnt lgkmcnt(0) vmcnt(0)
	;;#ASMEND
	s_waitcnt vmcnt(0) lgkmcnt(0)
	s_barrier
.LBB6_407:                              ;   in Loop: Header=BB6_272 Depth=3
	s_or_b64 exec, exec, s[76:77]
	v_and_b32_e32 v0, 16, v45
.LBB6_408:                              ;   in Loop: Header=BB6_272 Depth=3
	s_or_b64 exec, exec, s[28:29]
	v_cmp_ne_u32_e32 vcc, 0, v0
	s_xor_b64 s[28:29], s[12:13], -1
	s_and_b64 s[76:77], vcc, s[28:29]
	s_and_saveexec_b64 s[28:29], s[76:77]
	s_cbranch_execz .LBB6_410
; %bb.409:                              ;   in Loop: Header=BB6_272 Depth=3
	flat_store_dword v[40:41], v54
.LBB6_410:                              ;   in Loop: Header=BB6_272 Depth=3
	s_or_b64 exec, exec, s[28:29]
	v_and_b32_e32 v0, 48, v45
	v_cmp_ne_u32_e32 vcc, 0, v0
	s_and_saveexec_b64 s[28:29], vcc
	s_cbranch_execz .LBB6_271
; %bb.411:                              ;   in Loop: Header=BB6_272 Depth=3
	v_add_co_u32_e32 v15, vcc, 2, v15
	v_addc_co_u32_e32 v16, vcc, 0, v16, vcc
	flat_store_dwordx2 v[42:43], v[15:16]
	s_branch .LBB6_271
.LBB6_412:                              ;   in Loop: Header=BB6_269 Depth=2
	s_or_b64 exec, exec, s[42:43]
.LBB6_413:                              ;   in Loop: Header=BB6_269 Depth=2
	s_or_b64 exec, exec, s[40:41]
	v_cmp_gt_i32_e32 vcc, 2, v0
	s_and_saveexec_b64 s[40:41], vcc
	s_cbranch_execz .LBB6_268
; %bb.414:                              ;   in Loop: Header=BB6_269 Depth=2
	v_cmp_eq_u32_e64 s[74:75], 0, v0
	s_mov_b64 s[42:43], 0
	s_branch .LBB6_416
.LBB6_415:                              ;   in Loop: Header=BB6_416 Depth=3
	s_or_b64 exec, exec, s[28:29]
	v_add_u32_e32 v7, v17, v7
	s_mov_b64 s[74:75], 0
	s_andn2_b64 exec, exec, s[42:43]
	s_cbranch_execz .LBB6_267
.LBB6_416:                              ;   Parent Loop BB6_47 Depth=1
                                        ;     Parent Loop BB6_269 Depth=2
                                        ; =>    This Loop Header: Depth=3
                                        ;         Child Loop BB6_422 Depth 4
                                        ;         Child Loop BB6_450 Depth 4
	;; [unrolled: 1-line block ×3, first 2 shown]
	v_sub_u32_e32 v0, v44, v7
	v_min_i32_e32 v17, v17, v0
	v_and_b32_e32 v0, 12, v45
	v_cmp_ne_u32_e32 vcc, 0, v0
	s_and_saveexec_b64 s[76:77], vcc
	s_cbranch_execz .LBB6_442
; %bb.417:                              ;   in Loop: Header=BB6_416 Depth=3
	v_and_b32_e32 v0, 8, v45
	s_waitcnt vmcnt(0) lgkmcnt(0)
	v_add_co_u32_e32 v1, vcc, v37, v0
	v_addc_co_u32_e32 v2, vcc, 0, v38, vcc
	v_add_co_u32_e32 v8, vcc, 2, v15
	v_addc_co_u32_e32 v9, vcc, 0, v16, vcc
	v_cmp_lt_u64_e32 vcc, v[1:2], v[8:9]
	s_and_saveexec_b64 s[78:79], vcc
	s_cbranch_execz .LBB6_429
; %bb.418:                              ;   in Loop: Header=BB6_416 Depth=3
	v_and_b32_e32 v1, 64, v45
	s_mov_b32 s27, 0
	v_cmp_eq_u32_e32 vcc, 0, v1
	s_mov_b64 s[88:89], 0
                                        ; implicit-def: $sgpr90_sgpr91
                                        ; implicit-def: $sgpr92_sgpr93
                                        ; implicit-def: $sgpr94_sgpr95
	s_branch .LBB6_422
.LBB6_419:                              ;   in Loop: Header=BB6_422 Depth=4
	s_waitcnt vmcnt(0) lgkmcnt(0)
	v_add_co_u32_e64 v2, s[28:29], v37, v0
	v_addc_co_u32_e64 v3, s[28:29], 0, v38, s[28:29]
	v_cmp_ge_u64_e64 s[28:29], v[2:3], v[8:9]
	s_or_b64 s[36:37], s[36:37], exec
	s_orn2_b64 s[34:35], s[28:29], exec
.LBB6_420:                              ;   in Loop: Header=BB6_422 Depth=4
	s_or_b64 exec, exec, s[48:49]
	s_andn2_b64 s[28:29], s[94:95], exec
	s_and_b64 s[94:95], s[36:37], exec
	s_or_b64 s[94:95], s[28:29], s[94:95]
	s_andn2_b64 s[28:29], s[92:93], exec
	s_and_b64 s[92:93], s[34:35], exec
	s_or_b64 s[92:93], s[28:29], s[92:93]
.LBB6_421:                              ;   in Loop: Header=BB6_422 Depth=4
	s_or_b64 exec, exec, s[30:31]
	s_and_b64 s[28:29], exec, s[92:93]
	s_or_b64 s[88:89], s[28:29], s[88:89]
	s_andn2_b64 s[28:29], s[90:91], exec
	s_and_b64 s[90:91], s[94:95], exec
	s_or_b64 s[90:91], s[28:29], s[90:91]
	s_andn2_b64 exec, exec, s[88:89]
	s_cbranch_execz .LBB6_426
.LBB6_422:                              ;   Parent Loop BB6_47 Depth=1
                                        ;     Parent Loop BB6_269 Depth=2
                                        ;       Parent Loop BB6_416 Depth=3
                                        ; =>      This Inner Loop Header: Depth=4
	s_sleep 1
	s_waitcnt vmcnt(0) lgkmcnt(0)
	flat_load_dwordx2 v[37:38], v[42:43] glc
	s_or_b64 s[94:95], s[94:95], exec
	s_or_b64 s[92:93], s[92:93], exec
                                        ; implicit-def: $vgpr1
	s_and_saveexec_b64 s[30:31], vcc
	s_cbranch_execz .LBB6_421
; %bb.423:                              ;   in Loop: Header=BB6_422 Depth=4
	s_cmpk_lt_i32 s27, 0x270f
	s_cselect_b64 s[38:39], -1, 0
	s_cmpk_gt_i32 s27, 0x270e
	s_mov_b64 s[34:35], -1
	s_cbranch_scc0 .LBB6_425
; %bb.424:                              ;   in Loop: Header=BB6_422 Depth=4
	s_trap 2
	ds_read_b64 v[1:2], v0
	s_andn2_b64 s[38:39], s[38:39], exec
	s_mov_b32 s27, 0
	s_mov_b64 s[36:37], 0
	s_waitcnt vmcnt(0) lgkmcnt(0)
	flat_load_dword v1, v[1:2] glc
	s_waitcnt vmcnt(0) lgkmcnt(0)
	buffer_wbinvl1_vol
	v_cmp_eq_u32_e64 s[28:29], 0, v1
	s_and_b64 s[28:29], s[28:29], exec
	s_or_b64 s[38:39], s[38:39], s[28:29]
	s_and_saveexec_b64 s[48:49], s[38:39]
	s_cbranch_execz .LBB6_420
	s_branch .LBB6_419
.LBB6_425:                              ;   in Loop: Header=BB6_422 Depth=4
	s_add_i32 s27, s27, 1
	s_mov_b64 s[36:37], -1
                                        ; implicit-def: $vgpr1
	s_and_saveexec_b64 s[48:49], s[38:39]
	s_cbranch_execz .LBB6_420
	s_branch .LBB6_419
.LBB6_426:                              ;   in Loop: Header=BB6_416 Depth=3
	s_or_b64 exec, exec, s[88:89]
	s_xor_b64 s[28:29], s[90:91], -1
	s_and_saveexec_b64 s[88:89], s[28:29]
	s_xor_b64 s[28:29], exec, s[88:89]
	s_cbranch_execz .LBB6_428
; %bb.427:                              ;   in Loop: Header=BB6_416 Depth=3
	v_or_b32_e32 v45, 64, v45
	s_waitcnt lgkmcnt(0)
	ds_write_b32 v0, v1
	s_trap 2
.LBB6_428:                              ;   in Loop: Header=BB6_416 Depth=3
	s_or_b64 exec, exec, s[28:29]
.LBB6_429:                              ;   in Loop: Header=BB6_416 Depth=3
	s_or_b64 exec, exec, s[78:79]
	v_and_b32_e32 v1, 0x108, v45
	v_cmp_ne_u32_e32 vcc, s55, v1
	;;#ASMSTART
	s_wakeup
	;;#ASMEND
                                        ; implicit-def: $vgpr10_vgpr11
	s_and_saveexec_b64 s[28:29], vcc
	s_xor_b64 s[28:29], exec, s[28:29]
; %bb.430:                              ;   in Loop: Header=BB6_416 Depth=3
	v_and_b32_e32 v10, 7, v15
	v_mov_b32_e32 v11, v51
                                        ; implicit-def: $vgpr15_vgpr16
; %bb.431:                              ;   in Loop: Header=BB6_416 Depth=3
	s_andn2_saveexec_b64 s[28:29], s[28:29]
	s_cbranch_execz .LBB6_433
; %bb.432:                              ;   in Loop: Header=BB6_416 Depth=3
	buffer_load_dword v1, off, s[0:3], s33 offset:120 ; 4-byte Folded Reload
	buffer_load_dword v2, off, s[0:3], s33 offset:124 ; 4-byte Folded Reload
	;; [unrolled: 1-line block ×4, first 2 shown]
	v_and_b32_e32 v10, 7, v15
	v_mov_b32_e32 v11, v51
	v_ashrrev_i32_e32 v18, 31, v17
	s_waitcnt vmcnt(0)
	v_mad_u64_u32 v[1:2], s[78:79], v10, 24, v[1:2]
	flat_store_dwordx2 v[1:2], v[17:18] offset:8
.LBB6_433:                              ;   in Loop: Header=BB6_416 Depth=3
	s_or_b64 exec, exec, s[28:29]
	v_and_b32_e32 v1, 0x100, v45
	v_cmp_ne_u32_e32 vcc, 0, v1
	s_mov_b64 s[28:29], -1
                                        ; implicit-def: $vgpr12_vgpr13
	s_and_saveexec_b64 s[78:79], vcc
	s_cbranch_execz .LBB6_437
; %bb.434:                              ;   in Loop: Header=BB6_416 Depth=3
	buffer_load_dword v1, off, s[0:3], s33 offset:120 ; 4-byte Folded Reload
	buffer_load_dword v2, off, s[0:3], s33 offset:124 ; 4-byte Folded Reload
	;; [unrolled: 1-line block ×4, first 2 shown]
                                        ; implicit-def: $vgpr12_vgpr13
	s_waitcnt vmcnt(0)
	v_mad_u64_u32 v[14:15], s[28:29], v10, 24, v[1:2]
	v_mov_b32_e32 v1, v15
	v_mad_u64_u32 v[1:2], s[28:29], v11, 24, v[1:2]
	v_mov_b32_e32 v15, v1
	flat_load_dword v1, v[14:15]
	s_waitcnt vmcnt(0) lgkmcnt(0)
	v_cmp_ne_u32_e32 vcc, 1, v1
	v_cmp_eq_u32_e64 s[28:29], 1, v1
	s_and_saveexec_b64 s[88:89], s[28:29]
	s_cbranch_execz .LBB6_436
; %bb.435:                              ;   in Loop: Header=BB6_416 Depth=3
	flat_load_dword v12, v[14:15] offset:4 glc
	s_waitcnt vmcnt(0) lgkmcnt(0)
	v_ashrrev_i32_e32 v13, 31, v12
.LBB6_436:                              ;   in Loop: Header=BB6_416 Depth=3
	s_or_b64 exec, exec, s[88:89]
	s_orn2_b64 s[28:29], vcc, exec
.LBB6_437:                              ;   in Loop: Header=BB6_416 Depth=3
	s_or_b64 exec, exec, s[78:79]
	s_and_saveexec_b64 s[78:79], s[28:29]
	s_cbranch_execz .LBB6_439
; %bb.438:                              ;   in Loop: Header=BB6_416 Depth=3
	buffer_load_dword v3, off, s[0:3], s33 offset:144 ; 4-byte Folded Reload
	v_mul_lo_u32 v2, v10, v39
	s_waitcnt vmcnt(0)
	v_mul_lo_u32 v1, v11, v3
	v_mad_u64_u32 v[12:13], s[28:29], v10, v3, 0
	v_add3_u32 v13, v13, v2, v1
.LBB6_439:                              ;   in Loop: Header=BB6_416 Depth=3
	s_or_b64 exec, exec, s[78:79]
	v_cmp_eq_u32_e32 vcc, 0, v0
	v_cndmask_b32_e32 v2, v26, v24, vcc
	v_add_co_u32_e32 v0, vcc, v48, v12
	v_addc_co_u32_e32 v1, vcc, v49, v13, vcc
	v_add_u32_e32 v2, v0, v2
	ds_write_b64 v2, v[0:1] offset:584
	v_and_b32_e32 v0, 0x2000, v45
	v_cmp_ne_u32_e32 vcc, 0, v0
	s_and_saveexec_b64 s[28:29], vcc
	s_cbranch_execz .LBB6_441
; %bb.440:                              ;   in Loop: Header=BB6_416 Depth=3
	ds_read_b64 v[0:1], v0 offset:872
	s_waitcnt lgkmcnt(0)
	v_add_co_u32_e32 v0, vcc, 1, v0
	v_addc_co_u32_e32 v1, vcc, 0, v1, vcc
	ds_write_b64 v0, v[0:1] offset:872
.LBB6_441:                              ;   in Loop: Header=BB6_416 Depth=3
	s_or_b64 exec, exec, s[28:29]
	v_mov_b32_e32 v16, v9
	v_mov_b32_e32 v15, v8
.LBB6_442:                              ;   in Loop: Header=BB6_416 Depth=3
	s_or_b64 exec, exec, s[76:77]
	s_xor_b64 s[28:29], s[74:75], -1
	s_and_b64 s[28:29], exec, s[28:29]
	s_or_b64 s[42:43], s[28:29], s[42:43]
	s_and_saveexec_b64 s[28:29], s[10:11]
	s_cbranch_execz .LBB6_461
; %bb.443:                              ;   in Loop: Header=BB6_416 Depth=3
	s_and_saveexec_b64 s[74:75], s[56:57]
	s_xor_b64 s[74:75], exec, s[74:75]
	s_cbranch_execz .LBB6_458
; %bb.444:                              ;   in Loop: Header=BB6_416 Depth=3
	s_and_saveexec_b64 s[76:77], s[16:17]
	s_cbranch_execz .LBB6_457
; %bb.445:                              ;   in Loop: Header=BB6_416 Depth=3
	s_mov_b64 s[88:89], exec
	v_mbcnt_lo_u32_b32 v0, s88, 0
	v_mbcnt_hi_u32_b32 v0, s89, v0
	v_cmp_eq_u32_e32 vcc, 0, v0
	s_waitcnt vmcnt(0) lgkmcnt(0)
	buffer_wbinvl1_vol
	s_and_saveexec_b64 s[78:79], vcc
	s_cbranch_execz .LBB6_447
; %bb.446:                              ;   in Loop: Header=BB6_416 Depth=3
	s_bcnt1_i32_b64 s27, s[88:89]
	v_mov_b32_e32 v0, s27
	v_mov_b32_e32 v1, v51
	ds_add_u64 v0, v[0:1]
	s_trap 2
.LBB6_447:                              ;   in Loop: Header=BB6_416 Depth=3
	s_or_b64 exec, exec, s[78:79]
	s_trap 2
	ds_read_b64 v[0:1], v0
	s_waitcnt lgkmcnt(0)
	v_add_co_u32_e32 v56, vcc, v56, v53
	v_addc_co_u32_e32 v57, vcc, 0, v57, vcc
	v_cmp_lt_u64_e32 vcc, v[0:1], v[56:57]
	s_and_saveexec_b64 s[78:79], vcc
	s_cbranch_execz .LBB6_456
; %bb.448:                              ;   in Loop: Header=BB6_416 Depth=3
	s_mov_b32 s27, 0
	s_mov_b64 s[88:89], 0
                                        ; implicit-def: $sgpr90_sgpr91
                                        ; implicit-def: $sgpr92_sgpr93
	s_branch .LBB6_450
.LBB6_449:                              ;   in Loop: Header=BB6_450 Depth=4
	s_or_b64 exec, exec, s[30:31]
	s_and_b64 s[94:95], exec, vcc
	s_or_b64 s[88:89], s[94:95], s[88:89]
	s_andn2_b64 s[90:91], s[90:91], exec
	s_and_b64 s[94:95], s[92:93], exec
	s_or_b64 s[90:91], s[90:91], s[94:95]
	s_andn2_b64 exec, exec, s[88:89]
	s_cbranch_execz .LBB6_454
.LBB6_450:                              ;   Parent Loop BB6_47 Depth=1
                                        ;     Parent Loop BB6_269 Depth=2
                                        ;       Parent Loop BB6_416 Depth=3
                                        ; =>      This Inner Loop Header: Depth=4
	s_add_i32 s27, s27, 1
	s_cmpk_lg_i32 s27, 0x2710
	s_cselect_b64 s[94:95], -1, 0
	s_and_b64 vcc, exec, s[94:95]
	s_cbranch_vccz .LBB6_452
; %bb.451:                              ;   in Loop: Header=BB6_450 Depth=4
	s_mov_b64 vcc, -1
	s_or_b64 s[92:93], s[92:93], exec
	s_and_saveexec_b64 s[30:31], s[94:95]
	s_cbranch_execz .LBB6_449
	s_branch .LBB6_453
.LBB6_452:                              ;   in Loop: Header=BB6_450 Depth=4
	s_trap 2
	ds_read_b64 v[0:1], v0
	s_andn2_b64 s[94:95], s[94:95], exec
	s_mov_b32 s27, 0
	s_waitcnt lgkmcnt(0)
	flat_load_dword v0, v[0:1] glc
	s_waitcnt vmcnt(0) lgkmcnt(0)
	buffer_wbinvl1_vol
	v_cmp_eq_u32_e32 vcc, 0, v0
	s_and_b64 vcc, vcc, exec
	s_or_b64 s[94:95], s[94:95], vcc
	s_mov_b64 vcc, -1
	s_or_b64 s[92:93], s[92:93], exec
	s_and_saveexec_b64 s[30:31], s[94:95]
	s_cbranch_execz .LBB6_449
.LBB6_453:                              ;   in Loop: Header=BB6_450 Depth=4
	s_sleep 1
	s_trap 2
	ds_read_b64 v[0:1], v0
	s_waitcnt lgkmcnt(0)
	s_andn2_b64 s[92:93], s[92:93], exec
	v_cmp_ge_u64_e32 vcc, v[0:1], v[56:57]
	s_orn2_b64 vcc, vcc, exec
	s_branch .LBB6_449
.LBB6_454:                              ;   in Loop: Header=BB6_416 Depth=3
	s_or_b64 exec, exec, s[88:89]
	s_and_saveexec_b64 s[88:89], s[90:91]
	s_xor_b64 s[88:89], exec, s[88:89]
	s_cbranch_execz .LBB6_456
; %bb.455:                              ;   in Loop: Header=BB6_416 Depth=3
	ds_write_b32 v0, v54
	s_trap 2
.LBB6_456:                              ;   in Loop: Header=BB6_416 Depth=3
	s_or_b64 exec, exec, s[78:79]
	;;#ASMSTART
	s_wakeup
	;;#ASMEND
.LBB6_457:                              ;   in Loop: Header=BB6_416 Depth=3
	s_or_b64 exec, exec, s[76:77]
.LBB6_458:                              ;   in Loop: Header=BB6_416 Depth=3
	s_andn2_saveexec_b64 s[74:75], s[74:75]
	s_cbranch_execz .LBB6_460
; %bb.459:                              ;   in Loop: Header=BB6_416 Depth=3
	s_waitcnt vmcnt(0) lgkmcnt(0)
	buffer_wbinvl1_vol
	s_barrier
.LBB6_460:                              ;   in Loop: Header=BB6_416 Depth=3
	s_or_b64 exec, exec, s[74:75]
.LBB6_461:                              ;   in Loop: Header=BB6_416 Depth=3
	s_or_b64 exec, exec, s[28:29]
                                        ; implicit-def: $vgpr0
	s_and_saveexec_b64 s[28:29], s[62:63]
	s_xor_b64 s[28:29], exec, s[28:29]
	s_cbranch_execz .LBB6_473
; %bb.462:                              ;   in Loop: Header=BB6_416 Depth=3
	s_and_saveexec_b64 s[74:75], s[56:57]
	s_xor_b64 s[74:75], exec, s[74:75]
	s_cbranch_execz .LBB6_478
; %bb.463:                              ;   in Loop: Header=BB6_416 Depth=3
	s_and_saveexec_b64 s[76:77], s[16:17]
	s_cbranch_execz .LBB6_477
; %bb.464:                              ;   in Loop: Header=BB6_416 Depth=3
	s_mov_b64 s[88:89], exec
	v_mbcnt_lo_u32_b32 v0, s88, 0
	v_mbcnt_hi_u32_b32 v0, s89, v0
	v_cmp_eq_u32_e32 vcc, 0, v0
	;;#ASMSTART
	s_waitcnt lgkmcnt(0) vmcnt(0)
	;;#ASMEND
	s_and_saveexec_b64 s[78:79], vcc
	s_cbranch_execz .LBB6_466
; %bb.465:                              ;   in Loop: Header=BB6_416 Depth=3
	s_bcnt1_i32_b64 s27, s[88:89]
	v_mov_b32_e32 v0, s27
	v_mov_b32_e32 v1, v51
	s_waitcnt lgkmcnt(0)
	ds_add_u64 v0, v[0:1]
	s_trap 2
.LBB6_466:                              ;   in Loop: Header=BB6_416 Depth=3
	s_or_b64 exec, exec, s[78:79]
	s_trap 2
	ds_read_b64 v[0:1], v0
	s_waitcnt lgkmcnt(0)
	v_add_co_u32_e32 v56, vcc, v56, v53
	v_addc_co_u32_e32 v57, vcc, 0, v57, vcc
	v_cmp_lt_u64_e32 vcc, v[0:1], v[56:57]
	s_and_saveexec_b64 s[78:79], vcc
	s_cbranch_execz .LBB6_476
; %bb.467:                              ;   in Loop: Header=BB6_416 Depth=3
	s_mov_b32 s27, 0
	s_mov_b64 s[88:89], 0
                                        ; implicit-def: $sgpr90_sgpr91
                                        ; implicit-def: $sgpr92_sgpr93
	s_branch .LBB6_469
.LBB6_468:                              ;   in Loop: Header=BB6_469 Depth=4
	s_or_b64 exec, exec, s[30:31]
	s_and_b64 s[94:95], exec, vcc
	s_or_b64 s[88:89], s[94:95], s[88:89]
	s_andn2_b64 s[90:91], s[90:91], exec
	s_and_b64 s[94:95], s[92:93], exec
	s_or_b64 s[90:91], s[90:91], s[94:95]
	s_andn2_b64 exec, exec, s[88:89]
	s_cbranch_execz .LBB6_474
.LBB6_469:                              ;   Parent Loop BB6_47 Depth=1
                                        ;     Parent Loop BB6_269 Depth=2
                                        ;       Parent Loop BB6_416 Depth=3
                                        ; =>      This Inner Loop Header: Depth=4
	s_add_i32 s27, s27, 1
	s_cmpk_lg_i32 s27, 0x2710
	s_cselect_b64 s[94:95], -1, 0
	s_and_b64 vcc, exec, s[94:95]
	s_cbranch_vccz .LBB6_471
; %bb.470:                              ;   in Loop: Header=BB6_469 Depth=4
	s_mov_b64 vcc, -1
	s_or_b64 s[92:93], s[92:93], exec
	s_and_saveexec_b64 s[30:31], s[94:95]
	s_cbranch_execz .LBB6_468
	s_branch .LBB6_472
.LBB6_471:                              ;   in Loop: Header=BB6_469 Depth=4
	s_trap 2
	ds_read_b64 v[0:1], v0
	s_andn2_b64 s[94:95], s[94:95], exec
	s_mov_b32 s27, 0
	s_waitcnt vmcnt(0) lgkmcnt(0)
	flat_load_dword v0, v[0:1] glc
	s_waitcnt vmcnt(0) lgkmcnt(0)
	buffer_wbinvl1_vol
	v_cmp_eq_u32_e32 vcc, 0, v0
	s_and_b64 vcc, vcc, exec
	s_or_b64 s[94:95], s[94:95], vcc
	s_mov_b64 vcc, -1
	s_or_b64 s[92:93], s[92:93], exec
	s_and_saveexec_b64 s[30:31], s[94:95]
	s_cbranch_execz .LBB6_468
.LBB6_472:                              ;   in Loop: Header=BB6_469 Depth=4
	s_sleep 1
	s_trap 2
	ds_read_b64 v[0:1], v0
	s_waitcnt lgkmcnt(0)
	s_andn2_b64 s[92:93], s[92:93], exec
	v_cmp_ge_u64_e32 vcc, v[0:1], v[56:57]
	s_orn2_b64 vcc, vcc, exec
	s_branch .LBB6_468
.LBB6_473:                              ;   in Loop: Header=BB6_416 Depth=3
	s_andn2_saveexec_b64 s[28:29], s[28:29]
	s_cbranch_execnz .LBB6_481
	s_branch .LBB6_484
.LBB6_474:                              ;   in Loop: Header=BB6_416 Depth=3
	s_or_b64 exec, exec, s[88:89]
	s_and_saveexec_b64 s[88:89], s[90:91]
	s_xor_b64 s[88:89], exec, s[88:89]
	s_cbranch_execz .LBB6_476
; %bb.475:                              ;   in Loop: Header=BB6_416 Depth=3
	ds_write_b32 v0, v54
	s_trap 2
.LBB6_476:                              ;   in Loop: Header=BB6_416 Depth=3
	s_or_b64 exec, exec, s[78:79]
	;;#ASMSTART
	s_wakeup
	;;#ASMEND
.LBB6_477:                              ;   in Loop: Header=BB6_416 Depth=3
	s_or_b64 exec, exec, s[76:77]
.LBB6_478:                              ;   in Loop: Header=BB6_416 Depth=3
	s_andn2_saveexec_b64 s[74:75], s[74:75]
	s_cbranch_execz .LBB6_480
; %bb.479:                              ;   in Loop: Header=BB6_416 Depth=3
	;;#ASMSTART
	s_waitcnt lgkmcnt(0) vmcnt(0)
	;;#ASMEND
	s_waitcnt vmcnt(0) lgkmcnt(0)
	s_barrier
.LBB6_480:                              ;   in Loop: Header=BB6_416 Depth=3
	s_or_b64 exec, exec, s[74:75]
	v_and_b32_e32 v0, 16, v45
	s_andn2_saveexec_b64 s[28:29], s[28:29]
	s_cbranch_execz .LBB6_484
.LBB6_481:                              ;   in Loop: Header=BB6_416 Depth=3
	s_trap 2
	ds_read_b32 v0, v0
	v_cmp_lt_i32_e32 vcc, 0, v17
	v_and_b32_e32 v1, 16, v45
	s_waitcnt lgkmcnt(0)
	v_readfirstlane_b32 s27, v0
	s_cmp_eq_u32 s27, 0
	s_cselect_b64 s[74:75], -1, 0
	s_and_b64 s[74:75], vcc, s[74:75]
	v_cmp_ne_u32_e32 vcc, 0, v1
	v_and_b32_e32 v0, 16, v45
	s_and_b64 s[76:77], vcc, s[74:75]
	s_and_saveexec_b64 s[74:75], s[76:77]
	s_cbranch_execz .LBB6_483
; %bb.482:                              ;   in Loop: Header=BB6_416 Depth=3
	v_mov_b32_e32 v0, 1
	s_waitcnt vmcnt(0)
	buffer_wbinvl1_vol
.LBB6_483:                              ;   in Loop: Header=BB6_416 Depth=3
	s_or_b64 exec, exec, s[74:75]
.LBB6_484:                              ;   in Loop: Header=BB6_416 Depth=3
	s_or_b64 exec, exec, s[28:29]
	v_cmp_ne_u32_e32 vcc, 0, v0
	s_xor_b64 s[28:29], s[12:13], -1
	s_and_b64 s[74:75], vcc, s[28:29]
	s_and_saveexec_b64 s[28:29], s[74:75]
	s_cbranch_execz .LBB6_486
; %bb.485:                              ;   in Loop: Header=BB6_416 Depth=3
	flat_store_dword v[40:41], v54
.LBB6_486:                              ;   in Loop: Header=BB6_416 Depth=3
	s_or_b64 exec, exec, s[28:29]
	v_and_b32_e32 v0, 48, v45
	v_cmp_ne_u32_e32 vcc, 0, v0
	s_and_saveexec_b64 s[28:29], vcc
	s_cbranch_execz .LBB6_415
; %bb.487:                              ;   in Loop: Header=BB6_416 Depth=3
	v_add_co_u32_e32 v15, vcc, 2, v15
	v_addc_co_u32_e32 v16, vcc, 0, v16, vcc
	flat_store_dwordx2 v[42:43], v[15:16]
	s_branch .LBB6_415
.LBB6_488:                              ;   in Loop: Header=BB6_47 Depth=1
	buffer_load_dword v5, off, s[0:3], s33 offset:352 ; 4-byte Folded Reload
	buffer_load_dword v6, off, s[0:3], s33 offset:356 ; 4-byte Folded Reload
	v_readlane_b32 s26, v62, 11
	v_mov_b32_e32 v14, 0
	s_waitcnt vmcnt(0)
	v_mul_lo_u32 v1, v5, s26
	v_mul_lo_u32 v0, v6, s50
	v_mad_u64_u32 v[3:4], s[26:27], v5, s50, 0
	v_add3_u32 v4, v4, v1, v0
	buffer_load_dword v0, off, s[0:3], s33 offset:344 ; 4-byte Folded Reload
	buffer_load_dword v1, off, s[0:3], s33 offset:348 ; 4-byte Folded Reload
	s_waitcnt vmcnt(0)
	v_sub_co_u32_e32 v0, vcc, v0, v3
	v_subb_co_u32_e32 v1, vcc, v1, v4, vcc
	v_cmp_lt_i64_e32 vcc, v[5:6], v[0:1]
	v_cndmask_b32_e32 v1, v0, v5, vcc
	v_max_i32_e32 v52, 0, v1
	v_add_u32_e32 v2, 31, v52
	v_lshrrev_b32_e32 v2, 1, v2
	v_and_b32_e32 v2, 0x3ffffff0, v2
	v_cmp_lt_i32_e32 vcc, 0, v1
	v_mov_b32_e32 v0, 0
	v_max_i32_e32 v46, s98, v2
	s_and_b64 s[26:27], s[72:73], vcc
	s_and_saveexec_b64 s[74:75], s[26:27]
	s_cbranch_execz .LBB6_669
; %bb.489:                              ;   in Loop: Header=BB6_47 Depth=1
	buffer_load_dword v0, off, s[0:3], s33 offset:176 ; 4-byte Folded Reload
	s_mov_b32 s26, 1
	s_mov_b64 s[78:79], -1
	v_mov_b32_e32 v14, 0
	s_mov_b64 s[76:77], 0
	buffer_store_dword v52, off, s[0:3], s33 offset:360 ; 4-byte Folded Spill
	s_waitcnt vmcnt(0)
	v_add_co_u32_e32 v0, vcc, v3, v0
	buffer_store_dword v0, off, s[0:3], s33 offset:304 ; 4-byte Folded Spill
	buffer_load_dword v0, off, s[0:3], s33 offset:180 ; 4-byte Folded Reload
	s_waitcnt vmcnt(0)
	v_addc_co_u32_e32 v0, vcc, v4, v0, vcc
	buffer_store_dword v0, off, s[0:3], s33 offset:312 ; 4-byte Folded Spill
	s_branch .LBB6_491
.LBB6_490:                              ;   in Loop: Header=BB6_491 Depth=2
	s_or_b64 exec, exec, s[28:29]
	v_add_u32_e32 v14, v46, v14
	v_cmp_ge_i32_e32 vcc, v14, v52
	s_xor_b64 s[28:29], s[78:79], -1
	s_or_b64 s[28:29], s[28:29], vcc
	s_and_b64 s[28:29], exec, s[28:29]
	s_or_b64 s[76:77], s[28:29], s[76:77]
	s_mov_b64 s[78:79], 0
	v_mov_b32_e32 v0, s26
	s_mov_b32 s26, 2
	s_andn2_b64 exec, exec, s[76:77]
	s_cbranch_execz .LBB6_668
.LBB6_491:                              ;   Parent Loop BB6_47 Depth=1
                                        ; =>  This Loop Header: Depth=2
                                        ;       Child Loop BB6_499 Depth 3
                                        ;       Child Loop BB6_527 Depth 3
	;; [unrolled: 1-line block ×5, first 2 shown]
                                        ;         Child Loop BB6_574 Depth 4
                                        ;       Child Loop BB6_588 Depth 3
                                        ;       Child Loop BB6_593 Depth 3
                                        ;         Child Loop BB6_594 Depth 4
                                        ;       Child Loop BB6_606 Depth 3
                                        ;       Child Loop BB6_611 Depth 3
	;; [unrolled: 1-line block ×6, first 2 shown]
	s_and_saveexec_b64 s[28:29], s[4:5]
	s_cbranch_execz .LBB6_493
; %bb.492:                              ;   in Loop: Header=BB6_491 Depth=2
	s_trap 2
	buffer_load_dword v5, off, s[0:3], s33 offset:304 ; 4-byte Folded Reload
	buffer_load_dword v6, off, s[0:3], s33 offset:312 ; 4-byte Folded Reload
	s_waitcnt vmcnt(0)
	ds_read2_b64 v[0:3], v0 offset1:1
	v_ashrrev_i32_e32 v4, 31, v14
	s_waitcnt vmcnt(0) lgkmcnt(0)
	v_add_co_u32_e32 v0, vcc, v0, v5
	v_addc_co_u32_e32 v1, vcc, v1, v6, vcc
	v_add_co_u32_e32 v0, vcc, v0, v14
	v_addc_co_u32_e32 v1, vcc, v1, v4, vcc
	ds_write_b64 v0, v[0:1]
	v_add_co_u32_e32 v0, vcc, v2, v5
	v_addc_co_u32_e32 v1, vcc, v3, v6, vcc
	v_add_co_u32_e32 v0, vcc, v0, v14
	v_addc_co_u32_e32 v1, vcc, v1, v4, vcc
	ds_write_b64 v0, v[0:1]
	ds_read_b64 v[0:1], v0
	s_waitcnt lgkmcnt(0)
	v_add_co_u32_e32 v2, vcc, v0, v5
	v_addc_co_u32_e32 v3, vcc, v1, v6, vcc
	v_add_co_u32_e32 v2, vcc, v2, v14
	v_addc_co_u32_e32 v3, vcc, v3, v4, vcc
	v_cmp_ne_u64_e32 vcc, 0, v[0:1]
	v_cndmask_b32_e32 v1, 0, v3, vcc
	v_cndmask_b32_e32 v0, 0, v2, vcc
	ds_write_b64 v0, v[0:1]
.LBB6_493:                              ;   in Loop: Header=BB6_491 Depth=2
	s_or_b64 exec, exec, s[28:29]
	v_sub_u32_e32 v0, v52, v14
	v_min_i32_e32 v46, v46, v0
	v_and_b32_e32 v0, 12, v45
	v_cmp_ne_u32_e32 vcc, 0, v0
	s_and_saveexec_b64 s[40:41], vcc
	s_cbranch_execz .LBB6_519
; %bb.494:                              ;   in Loop: Header=BB6_491 Depth=2
	v_and_b32_e32 v0, 8, v45
	s_waitcnt vmcnt(0) lgkmcnt(0)
	v_add_co_u32_e32 v1, vcc, v37, v0
	v_addc_co_u32_e32 v2, vcc, 0, v38, vcc
	v_add_co_u32_e32 v3, vcc, 2, v15
	v_addc_co_u32_e32 v4, vcc, 0, v16, vcc
	v_cmp_lt_u64_e32 vcc, v[1:2], v[3:4]
	s_and_saveexec_b64 s[42:43], vcc
	s_cbranch_execz .LBB6_506
; %bb.495:                              ;   in Loop: Header=BB6_491 Depth=2
	v_and_b32_e32 v1, 64, v45
	s_mov_b32 s27, 0
	v_cmp_eq_u32_e32 vcc, 0, v1
	s_mov_b64 s[88:89], 0
                                        ; implicit-def: $sgpr90_sgpr91
                                        ; implicit-def: $sgpr92_sgpr93
                                        ; implicit-def: $sgpr94_sgpr95
	s_branch .LBB6_499
.LBB6_496:                              ;   in Loop: Header=BB6_499 Depth=3
	s_waitcnt vmcnt(0) lgkmcnt(0)
	v_add_co_u32_e64 v5, s[28:29], v37, v0
	v_addc_co_u32_e64 v6, s[28:29], 0, v38, s[28:29]
	v_cmp_ge_u64_e64 s[28:29], v[5:6], v[3:4]
	s_or_b64 s[36:37], s[36:37], exec
	s_orn2_b64 s[34:35], s[28:29], exec
.LBB6_497:                              ;   in Loop: Header=BB6_499 Depth=3
	s_or_b64 exec, exec, s[48:49]
	s_andn2_b64 s[28:29], s[94:95], exec
	s_and_b64 s[94:95], s[36:37], exec
	s_or_b64 s[94:95], s[28:29], s[94:95]
	s_andn2_b64 s[28:29], s[92:93], exec
	s_and_b64 s[92:93], s[34:35], exec
	s_or_b64 s[92:93], s[28:29], s[92:93]
.LBB6_498:                              ;   in Loop: Header=BB6_499 Depth=3
	s_or_b64 exec, exec, s[30:31]
	s_and_b64 s[28:29], exec, s[92:93]
	s_or_b64 s[88:89], s[28:29], s[88:89]
	s_andn2_b64 s[28:29], s[90:91], exec
	s_and_b64 s[90:91], s[94:95], exec
	s_or_b64 s[90:91], s[28:29], s[90:91]
	s_andn2_b64 exec, exec, s[88:89]
	s_cbranch_execz .LBB6_503
.LBB6_499:                              ;   Parent Loop BB6_47 Depth=1
                                        ;     Parent Loop BB6_491 Depth=2
                                        ; =>    This Inner Loop Header: Depth=3
	s_sleep 1
	s_waitcnt vmcnt(0) lgkmcnt(0)
	flat_load_dwordx2 v[37:38], v[42:43] glc
	s_or_b64 s[94:95], s[94:95], exec
	s_or_b64 s[92:93], s[92:93], exec
                                        ; implicit-def: $vgpr1
	s_and_saveexec_b64 s[30:31], vcc
	s_cbranch_execz .LBB6_498
; %bb.500:                              ;   in Loop: Header=BB6_499 Depth=3
	s_cmpk_lt_i32 s27, 0x270f
	s_cselect_b64 s[38:39], -1, 0
	s_cmpk_gt_i32 s27, 0x270e
	s_mov_b64 s[34:35], -1
	s_cbranch_scc0 .LBB6_502
; %bb.501:                              ;   in Loop: Header=BB6_499 Depth=3
	s_trap 2
	ds_read_b64 v[1:2], v0
	s_andn2_b64 s[38:39], s[38:39], exec
	s_mov_b32 s27, 0
	s_mov_b64 s[36:37], 0
	s_waitcnt vmcnt(0) lgkmcnt(0)
	flat_load_dword v1, v[1:2] glc
	s_waitcnt vmcnt(0) lgkmcnt(0)
	buffer_wbinvl1_vol
	v_cmp_eq_u32_e64 s[28:29], 0, v1
	s_and_b64 s[28:29], s[28:29], exec
	s_or_b64 s[38:39], s[38:39], s[28:29]
	s_and_saveexec_b64 s[48:49], s[38:39]
	s_cbranch_execz .LBB6_497
	s_branch .LBB6_496
.LBB6_502:                              ;   in Loop: Header=BB6_499 Depth=3
	s_add_i32 s27, s27, 1
	s_mov_b64 s[36:37], -1
                                        ; implicit-def: $vgpr1
	s_and_saveexec_b64 s[48:49], s[38:39]
	s_cbranch_execz .LBB6_497
	s_branch .LBB6_496
.LBB6_503:                              ;   in Loop: Header=BB6_491 Depth=2
	s_or_b64 exec, exec, s[88:89]
	s_xor_b64 s[28:29], s[90:91], -1
	s_and_saveexec_b64 s[88:89], s[28:29]
	s_xor_b64 s[28:29], exec, s[88:89]
	s_cbranch_execz .LBB6_505
; %bb.504:                              ;   in Loop: Header=BB6_491 Depth=2
	v_or_b32_e32 v45, 64, v45
	s_waitcnt lgkmcnt(0)
	ds_write_b32 v0, v1
	s_trap 2
.LBB6_505:                              ;   in Loop: Header=BB6_491 Depth=2
	s_or_b64 exec, exec, s[28:29]
.LBB6_506:                              ;   in Loop: Header=BB6_491 Depth=2
	s_or_b64 exec, exec, s[42:43]
	v_and_b32_e32 v1, 0x108, v45
	v_cmp_ne_u32_e32 vcc, s55, v1
	;;#ASMSTART
	s_wakeup
	;;#ASMEND
                                        ; implicit-def: $vgpr8_vgpr9
	s_and_saveexec_b64 s[28:29], vcc
	s_xor_b64 s[28:29], exec, s[28:29]
; %bb.507:                              ;   in Loop: Header=BB6_491 Depth=2
	v_and_b32_e32 v8, 7, v15
	v_mov_b32_e32 v9, v51
                                        ; implicit-def: $vgpr15_vgpr16
; %bb.508:                              ;   in Loop: Header=BB6_491 Depth=2
	s_andn2_saveexec_b64 s[28:29], s[28:29]
	s_cbranch_execz .LBB6_510
; %bb.509:                              ;   in Loop: Header=BB6_491 Depth=2
	buffer_load_dword v9, off, s[0:3], s33 offset:120 ; 4-byte Folded Reload
	buffer_load_dword v10, off, s[0:3], s33 offset:124 ; 4-byte Folded Reload
	;; [unrolled: 1-line block ×4, first 2 shown]
	v_and_b32_e32 v8, 7, v15
	v_ashrrev_i32_e32 v47, 31, v46
	s_waitcnt vmcnt(0)
	v_mad_u64_u32 v[1:2], s[42:43], v8, 24, v[9:10]
	v_mov_b32_e32 v9, v51
	flat_store_dwordx2 v[1:2], v[46:47] offset:8
.LBB6_510:                              ;   in Loop: Header=BB6_491 Depth=2
	s_or_b64 exec, exec, s[28:29]
	v_and_b32_e32 v1, 0x100, v45
	v_cmp_ne_u32_e32 vcc, 0, v1
	s_mov_b64 s[28:29], -1
                                        ; implicit-def: $vgpr10_vgpr11
	s_and_saveexec_b64 s[42:43], vcc
	s_cbranch_execz .LBB6_514
; %bb.511:                              ;   in Loop: Header=BB6_491 Depth=2
	buffer_load_dword v10, off, s[0:3], s33 offset:120 ; 4-byte Folded Reload
	buffer_load_dword v11, off, s[0:3], s33 offset:124 ; 4-byte Folded Reload
	buffer_load_dword v12, off, s[0:3], s33 offset:128 ; 4-byte Folded Reload
	buffer_load_dword v13, off, s[0:3], s33 offset:132 ; 4-byte Folded Reload
	s_waitcnt vmcnt(0)
	v_mad_u64_u32 v[12:13], s[28:29], v8, 24, v[10:11]
                                        ; implicit-def: $vgpr10_vgpr11
	v_mov_b32_e32 v1, v13
	v_mad_u64_u32 v[1:2], s[28:29], v9, 24, v[1:2]
	v_mov_b32_e32 v13, v1
	flat_load_dword v1, v[12:13]
	s_waitcnt vmcnt(0) lgkmcnt(0)
	v_cmp_ne_u32_e32 vcc, 1, v1
	v_cmp_eq_u32_e64 s[28:29], 1, v1
	s_and_saveexec_b64 s[88:89], s[28:29]
	s_cbranch_execz .LBB6_513
; %bb.512:                              ;   in Loop: Header=BB6_491 Depth=2
	flat_load_dword v10, v[12:13] offset:4 glc
	s_waitcnt vmcnt(0) lgkmcnt(0)
	v_ashrrev_i32_e32 v11, 31, v10
.LBB6_513:                              ;   in Loop: Header=BB6_491 Depth=2
	s_or_b64 exec, exec, s[88:89]
	s_orn2_b64 s[28:29], vcc, exec
.LBB6_514:                              ;   in Loop: Header=BB6_491 Depth=2
	s_or_b64 exec, exec, s[42:43]
	s_and_saveexec_b64 s[42:43], s[28:29]
	s_cbranch_execz .LBB6_516
; %bb.515:                              ;   in Loop: Header=BB6_491 Depth=2
	buffer_load_dword v5, off, s[0:3], s33 offset:144 ; 4-byte Folded Reload
	v_mul_lo_u32 v2, v8, v39
	s_waitcnt vmcnt(0)
	v_mul_lo_u32 v1, v9, v5
	v_mad_u64_u32 v[10:11], s[28:29], v8, v5, 0
	v_add3_u32 v11, v11, v2, v1
.LBB6_516:                              ;   in Loop: Header=BB6_491 Depth=2
	s_or_b64 exec, exec, s[42:43]
	v_cmp_eq_u32_e32 vcc, 0, v0
	v_mov_b32_e32 v0, 0xd0
	v_cndmask_b32_e32 v2, v0, v24, vcc
	v_add_co_u32_e32 v0, vcc, v48, v10
	v_addc_co_u32_e32 v1, vcc, v49, v11, vcc
	v_add_u32_e32 v2, v0, v2
	ds_write_b64 v2, v[0:1] offset:584
	v_and_b32_e32 v0, 0x2000, v45
	v_cmp_ne_u32_e32 vcc, 0, v0
	s_and_saveexec_b64 s[28:29], vcc
	s_cbranch_execz .LBB6_518
; %bb.517:                              ;   in Loop: Header=BB6_491 Depth=2
	ds_read_b64 v[0:1], v0 offset:872
	s_waitcnt lgkmcnt(0)
	v_add_co_u32_e32 v0, vcc, 1, v0
	v_addc_co_u32_e32 v1, vcc, 0, v1, vcc
	ds_write_b64 v0, v[0:1] offset:872
.LBB6_518:                              ;   in Loop: Header=BB6_491 Depth=2
	s_or_b64 exec, exec, s[28:29]
	v_mov_b32_e32 v16, v4
	v_mov_b32_e32 v15, v3
.LBB6_519:                              ;   in Loop: Header=BB6_491 Depth=2
	s_or_b64 exec, exec, s[40:41]
	s_and_saveexec_b64 s[28:29], s[10:11]
	s_cbranch_execz .LBB6_538
; %bb.520:                              ;   in Loop: Header=BB6_491 Depth=2
	s_and_saveexec_b64 s[40:41], s[56:57]
	s_xor_b64 s[40:41], exec, s[40:41]
	s_cbranch_execz .LBB6_535
; %bb.521:                              ;   in Loop: Header=BB6_491 Depth=2
	s_and_saveexec_b64 s[42:43], s[16:17]
	s_cbranch_execz .LBB6_534
; %bb.522:                              ;   in Loop: Header=BB6_491 Depth=2
	s_mov_b64 s[90:91], exec
	v_mbcnt_lo_u32_b32 v0, s90, 0
	v_mbcnt_hi_u32_b32 v0, s91, v0
	v_cmp_eq_u32_e32 vcc, 0, v0
	s_waitcnt vmcnt(0) lgkmcnt(0)
	buffer_wbinvl1_vol
	s_and_saveexec_b64 s[88:89], vcc
	s_cbranch_execz .LBB6_524
; %bb.523:                              ;   in Loop: Header=BB6_491 Depth=2
	s_bcnt1_i32_b64 s27, s[90:91]
	v_mov_b32_e32 v0, s27
	v_mov_b32_e32 v1, v51
	ds_add_u64 v0, v[0:1]
	s_trap 2
.LBB6_524:                              ;   in Loop: Header=BB6_491 Depth=2
	s_or_b64 exec, exec, s[88:89]
	s_trap 2
	ds_read_b64 v[0:1], v0
	s_waitcnt lgkmcnt(0)
	v_add_co_u32_e32 v56, vcc, v56, v53
	v_addc_co_u32_e32 v57, vcc, 0, v57, vcc
	v_cmp_lt_u64_e32 vcc, v[0:1], v[56:57]
	s_and_saveexec_b64 s[88:89], vcc
	s_cbranch_execz .LBB6_533
; %bb.525:                              ;   in Loop: Header=BB6_491 Depth=2
	s_mov_b32 s27, 0
	s_mov_b64 s[90:91], 0
                                        ; implicit-def: $sgpr92_sgpr93
                                        ; implicit-def: $sgpr94_sgpr95
	s_branch .LBB6_527
.LBB6_526:                              ;   in Loop: Header=BB6_527 Depth=3
	s_or_b64 exec, exec, s[34:35]
	s_and_b64 vcc, exec, vcc
	s_or_b64 s[90:91], vcc, s[90:91]
	s_andn2_b64 s[92:93], s[92:93], exec
	s_and_b64 vcc, s[94:95], exec
	s_or_b64 s[92:93], s[92:93], vcc
	s_andn2_b64 exec, exec, s[90:91]
	s_cbranch_execz .LBB6_531
.LBB6_527:                              ;   Parent Loop BB6_47 Depth=1
                                        ;     Parent Loop BB6_491 Depth=2
                                        ; =>    This Inner Loop Header: Depth=3
	s_add_i32 s27, s27, 1
	s_cmpk_lg_i32 s27, 0x2710
	s_cselect_b64 s[30:31], -1, 0
	s_and_b64 vcc, exec, s[30:31]
	s_cbranch_vccz .LBB6_529
; %bb.528:                              ;   in Loop: Header=BB6_527 Depth=3
	s_mov_b64 vcc, -1
	s_or_b64 s[94:95], s[94:95], exec
	s_and_saveexec_b64 s[34:35], s[30:31]
	s_cbranch_execz .LBB6_526
	s_branch .LBB6_530
.LBB6_529:                              ;   in Loop: Header=BB6_527 Depth=3
	s_trap 2
	ds_read_b64 v[0:1], v0
	s_andn2_b64 s[30:31], s[30:31], exec
	s_mov_b32 s27, 0
	s_waitcnt lgkmcnt(0)
	flat_load_dword v0, v[0:1] glc
	s_waitcnt vmcnt(0) lgkmcnt(0)
	buffer_wbinvl1_vol
	v_cmp_eq_u32_e32 vcc, 0, v0
	s_and_b64 vcc, vcc, exec
	s_or_b64 s[30:31], s[30:31], vcc
	s_mov_b64 vcc, -1
	s_or_b64 s[94:95], s[94:95], exec
	s_and_saveexec_b64 s[34:35], s[30:31]
	s_cbranch_execz .LBB6_526
.LBB6_530:                              ;   in Loop: Header=BB6_527 Depth=3
	s_sleep 1
	s_trap 2
	ds_read_b64 v[0:1], v0
	s_waitcnt lgkmcnt(0)
	s_andn2_b64 s[94:95], s[94:95], exec
	v_cmp_ge_u64_e32 vcc, v[0:1], v[56:57]
	s_orn2_b64 vcc, vcc, exec
	s_branch .LBB6_526
.LBB6_531:                              ;   in Loop: Header=BB6_491 Depth=2
	s_or_b64 exec, exec, s[90:91]
	s_and_saveexec_b64 s[90:91], s[92:93]
	s_xor_b64 s[90:91], exec, s[90:91]
	s_cbranch_execz .LBB6_533
; %bb.532:                              ;   in Loop: Header=BB6_491 Depth=2
	ds_write_b32 v0, v54
	s_trap 2
.LBB6_533:                              ;   in Loop: Header=BB6_491 Depth=2
	s_or_b64 exec, exec, s[88:89]
	;;#ASMSTART
	s_wakeup
	;;#ASMEND
.LBB6_534:                              ;   in Loop: Header=BB6_491 Depth=2
	s_or_b64 exec, exec, s[42:43]
.LBB6_535:                              ;   in Loop: Header=BB6_491 Depth=2
	s_andn2_saveexec_b64 s[40:41], s[40:41]
	s_cbranch_execz .LBB6_537
; %bb.536:                              ;   in Loop: Header=BB6_491 Depth=2
	s_waitcnt vmcnt(0) lgkmcnt(0)
	buffer_wbinvl1_vol
	s_barrier
.LBB6_537:                              ;   in Loop: Header=BB6_491 Depth=2
	s_or_b64 exec, exec, s[40:41]
.LBB6_538:                              ;   in Loop: Header=BB6_491 Depth=2
	s_or_b64 exec, exec, s[28:29]
	s_trap 2
	ds_read_b32 v0, v0
	v_and_b32_e32 v1, 0x4000, v45
	v_cmp_ne_u32_e32 vcc, 0, v1
	s_xor_b64 s[28:29], s[6:7], -1
	s_and_b64 s[40:41], s[28:29], vcc
	s_and_saveexec_b64 s[28:29], s[40:41]
	s_cbranch_execz .LBB6_557
; %bb.539:                              ;   in Loop: Header=BB6_491 Depth=2
	s_and_saveexec_b64 s[40:41], s[56:57]
	s_xor_b64 s[40:41], exec, s[40:41]
	s_cbranch_execz .LBB6_554
; %bb.540:                              ;   in Loop: Header=BB6_491 Depth=2
	s_and_saveexec_b64 s[42:43], s[16:17]
	s_cbranch_execz .LBB6_553
; %bb.541:                              ;   in Loop: Header=BB6_491 Depth=2
	s_mov_b64 s[90:91], exec
	v_mbcnt_lo_u32_b32 v1, s90, 0
	v_mbcnt_hi_u32_b32 v1, s91, v1
	v_cmp_eq_u32_e32 vcc, 0, v1
	s_waitcnt vmcnt(0) lgkmcnt(0)
	buffer_wbinvl1_vol
	s_and_saveexec_b64 s[88:89], vcc
	s_cbranch_execz .LBB6_543
; %bb.542:                              ;   in Loop: Header=BB6_491 Depth=2
	s_bcnt1_i32_b64 s27, s[90:91]
	v_mov_b32_e32 v1, s27
	v_mov_b32_e32 v2, v51
	ds_add_u64 v0, v[1:2]
	s_trap 2
.LBB6_543:                              ;   in Loop: Header=BB6_491 Depth=2
	s_or_b64 exec, exec, s[88:89]
	s_trap 2
	ds_read_b64 v[1:2], v0
	s_waitcnt lgkmcnt(0)
	v_add_co_u32_e32 v56, vcc, v56, v53
	v_addc_co_u32_e32 v57, vcc, 0, v57, vcc
	v_cmp_lt_u64_e32 vcc, v[1:2], v[56:57]
	s_and_saveexec_b64 s[88:89], vcc
	s_cbranch_execz .LBB6_552
; %bb.544:                              ;   in Loop: Header=BB6_491 Depth=2
	s_mov_b32 s27, 0
	s_mov_b64 s[90:91], 0
                                        ; implicit-def: $sgpr92_sgpr93
                                        ; implicit-def: $sgpr94_sgpr95
	s_branch .LBB6_546
.LBB6_545:                              ;   in Loop: Header=BB6_546 Depth=3
	s_or_b64 exec, exec, s[34:35]
	s_and_b64 vcc, exec, vcc
	s_or_b64 s[90:91], vcc, s[90:91]
	s_andn2_b64 s[92:93], s[92:93], exec
	s_and_b64 vcc, s[94:95], exec
	s_or_b64 s[92:93], s[92:93], vcc
	s_andn2_b64 exec, exec, s[90:91]
	s_cbranch_execz .LBB6_550
.LBB6_546:                              ;   Parent Loop BB6_47 Depth=1
                                        ;     Parent Loop BB6_491 Depth=2
                                        ; =>    This Inner Loop Header: Depth=3
	s_add_i32 s27, s27, 1
	s_cmpk_lg_i32 s27, 0x2710
	s_cselect_b64 s[30:31], -1, 0
	s_and_b64 vcc, exec, s[30:31]
	s_cbranch_vccz .LBB6_548
; %bb.547:                              ;   in Loop: Header=BB6_546 Depth=3
	s_mov_b64 vcc, -1
	s_or_b64 s[94:95], s[94:95], exec
	s_and_saveexec_b64 s[34:35], s[30:31]
	s_cbranch_execz .LBB6_545
	s_branch .LBB6_549
.LBB6_548:                              ;   in Loop: Header=BB6_546 Depth=3
	s_trap 2
	ds_read_b64 v[1:2], v0
	s_andn2_b64 s[30:31], s[30:31], exec
	s_mov_b32 s27, 0
	s_waitcnt lgkmcnt(0)
	flat_load_dword v1, v[1:2] glc
	s_waitcnt vmcnt(0) lgkmcnt(0)
	buffer_wbinvl1_vol
	v_cmp_eq_u32_e32 vcc, 0, v1
	s_and_b64 vcc, vcc, exec
	s_or_b64 s[30:31], s[30:31], vcc
	s_mov_b64 vcc, -1
	s_or_b64 s[94:95], s[94:95], exec
	s_and_saveexec_b64 s[34:35], s[30:31]
	s_cbranch_execz .LBB6_545
.LBB6_549:                              ;   in Loop: Header=BB6_546 Depth=3
	s_sleep 1
	s_trap 2
	ds_read_b64 v[1:2], v0
	s_waitcnt lgkmcnt(0)
	s_andn2_b64 s[94:95], s[94:95], exec
	v_cmp_ge_u64_e32 vcc, v[1:2], v[56:57]
	s_orn2_b64 vcc, vcc, exec
	s_branch .LBB6_545
.LBB6_550:                              ;   in Loop: Header=BB6_491 Depth=2
	s_or_b64 exec, exec, s[90:91]
	s_and_saveexec_b64 s[90:91], s[92:93]
	s_xor_b64 s[90:91], exec, s[90:91]
	s_cbranch_execz .LBB6_552
; %bb.551:                              ;   in Loop: Header=BB6_491 Depth=2
	ds_write_b32 v0, v54
	s_trap 2
.LBB6_552:                              ;   in Loop: Header=BB6_491 Depth=2
	s_or_b64 exec, exec, s[88:89]
	;;#ASMSTART
	s_wakeup
	;;#ASMEND
.LBB6_553:                              ;   in Loop: Header=BB6_491 Depth=2
	s_or_b64 exec, exec, s[42:43]
.LBB6_554:                              ;   in Loop: Header=BB6_491 Depth=2
	s_andn2_saveexec_b64 s[40:41], s[40:41]
	s_cbranch_execz .LBB6_556
; %bb.555:                              ;   in Loop: Header=BB6_491 Depth=2
	s_waitcnt vmcnt(0) lgkmcnt(0)
	buffer_wbinvl1_vol
	s_barrier
.LBB6_556:                              ;   in Loop: Header=BB6_491 Depth=2
	s_or_b64 exec, exec, s[40:41]
.LBB6_557:                              ;   in Loop: Header=BB6_491 Depth=2
	s_or_b64 exec, exec, s[28:29]
	s_trap 2
	s_waitcnt lgkmcnt(0)
	ds_read_b64 v[28:29], v0
	s_waitcnt lgkmcnt(0)
	v_cmp_eq_u64_e32 vcc, 0, v[28:29]
	s_cbranch_vccnz .LBB6_579
; %bb.558:                              ;   in Loop: Header=BB6_491 Depth=2
	s_trap 2
	ds_read_b64 v[17:18], v0
	s_waitcnt lgkmcnt(0)
	v_cmp_eq_u64_e32 vcc, 0, v[17:18]
	s_cbranch_vccnz .LBB6_579
; %bb.559:                              ;   in Loop: Header=BB6_491 Depth=2
	s_trap 2
	ds_read_b64 v[30:31], v0
	v_cmp_eq_u32_e64 s[28:29], 0, v0
	v_cndmask_b32_e64 v47, 0, v46, s[28:29]
	s_mov_b64 s[28:29], -1
	s_waitcnt lgkmcnt(0)
	v_cmp_ne_u64_e32 vcc, 0, v[30:31]
	s_cbranch_vccz .LBB6_597
; %bb.560:                              ;   in Loop: Header=BB6_491 Depth=2
	s_and_saveexec_b64 s[40:41], s[22:23]
	s_cbranch_execz .LBB6_562
; %bb.561:                              ;   in Loop: Header=BB6_491 Depth=2
	ds_read_b32 v0, v0 offset:720
	s_waitcnt lgkmcnt(0)
	v_and_b32_e32 v0, 15, v0
	v_cmp_eq_u32_e32 vcc, 0, v0
	s_orn2_b64 s[28:29], vcc, exec
.LBB6_562:                              ;   in Loop: Header=BB6_491 Depth=2
	s_or_b64 exec, exec, s[40:41]
	s_mov_b64 s[40:41], exec
	buffer_load_dword v44, off, s[0:3], s33 offset:284 ; 4-byte Folded Reload
	s_and_b64 s[42:43], s[40:41], s[22:23]
	s_mov_b64 exec, s[42:43]
	s_cbranch_execz .LBB6_564
; %bb.563:                              ;   in Loop: Header=BB6_491 Depth=2
	ds_read_b32 v0, v0 offset:784
	s_waitcnt lgkmcnt(0)
	v_and_b32_e32 v0, 15, v0
	v_cmp_eq_u32_e32 vcc, 0, v0
	s_and_b64 s[42:43], s[28:29], vcc
	s_andn2_b64 s[28:29], s[28:29], exec
	s_and_b64 s[42:43], s[42:43], exec
	s_or_b64 s[28:29], s[28:29], s[42:43]
.LBB6_564:                              ;   in Loop: Header=BB6_491 Depth=2
	s_or_b64 exec, exec, s[40:41]
	s_xor_b64 s[28:29], s[28:29], -1
	v_cndmask_b32_e64 v0, 0, 1, s[28:29]
	s_mov_b64 s[40:41], -1
	v_cmp_ne_u32_e32 vcc, 0, v0
	s_cbranch_vccz .LBB6_584
; %bb.565:                              ;   in Loop: Header=BB6_491 Depth=2
	v_alignbit_b32 v0, v30, v30, 1
	v_readfirstlane_b32 s27, v0
	v_readfirstlane_b32 s38, v0
	s_bitset0_b32 s27, 31
	s_mov_b64 s[88:89], -1
	v_mov_b32_e32 v6, 0
	s_cbranch_execnz .LBB6_585
.LBB6_566:                              ;   in Loop: Header=BB6_491 Depth=2
	v_ashrrev_i32_e32 v0, 31, v47
	v_lshrrev_b32_e32 v0, 20, v0
	v_add_u32_e32 v0, v47, v0
	v_ashrrev_i32_e32 v1, 12, v0
	v_alignbit_b32 v0, v30, v30, 1
	v_readfirstlane_b32 s38, v0
	v_readfirstlane_b32 s27, v0
	buffer_load_dword v0, off, s[0:3], s33 offset:228 ; 4-byte Folded Reload
	s_bitset0_b32 s27, 31
	s_waitcnt vmcnt(0)
	v_sub_u32_e32 v58, v1, v0
	v_cmp_lt_i32_e32 vcc, 0, v58
	s_and_saveexec_b64 s[40:41], vcc
	s_cbranch_execz .LBB6_570
; %bb.567:                              ;   in Loop: Header=BB6_491 Depth=2
	v_cvt_f32_u32_e32 v0, s27
	buffer_store_dword v1, off, s[0:3], s33 offset:232 ; 4-byte Folded Spill
	buffer_store_dword v47, off, s[0:3], s33 offset:328 ; 4-byte Folded Spill
	;; [unrolled: 1-line block ×4, first 2 shown]
	s_nop 0
	buffer_store_dword v47, off, s[0:3], s33 offset:320 ; 4-byte Folded Spill
	buffer_store_dword v15, off, s[0:3], s33 offset:136 ; 4-byte Folded Spill
	s_nop 0
	buffer_store_dword v16, off, s[0:3], s33 offset:140 ; 4-byte Folded Spill
	buffer_store_dword v37, off, s[0:3], s33 offset:220 ; 4-byte Folded Spill
	;; [unrolled: 3-line block ×3, first 2 shown]
	s_nop 0
	buffer_store_dword v57, off, s[0:3], s33 offset:216 ; 4-byte Folded Spill
	s_sub_i32 s28, 0, s27
	s_mov_b64 s[90:91], 0
	v_rcp_iflag_f32_e32 v0, v0
	v_mul_f32_e32 v0, 0x4f7ffffe, v0
	v_cvt_u32_f32_e32 v2, v0
	v_mov_b32_e32 v0, v28
	v_mov_b32_e32 v1, v29
	v_add_co_u32_e32 v28, vcc, v0, v44
	buffer_store_dword v0, off, s[0:3], s33 offset:332 ; 4-byte Folded Spill
	s_nop 0
	buffer_store_dword v1, off, s[0:3], s33 offset:336 ; 4-byte Folded Spill
	s_trap 2
	v_readfirstlane_b32 s29, v2
	s_mul_i32 s28, s28, s29
	s_mul_hi_u32 s28, s29, s28
	s_add_i32 s29, s29, s28
	s_mul_hi_u32 s28, s29, -1
	s_mul_i32 s29, s28, s27
	s_not_b32 s29, s29
	s_add_i32 s42, s28, 1
	s_sub_i32 s43, s29, s27
	s_cmp_ge_u32 s29, s27
	s_cselect_b32 s28, s42, s28
	s_cselect_b32 s29, s43, s29
	s_add_i32 s42, s28, 1
	s_cmp_ge_u32 s29, s27
	s_cselect_b32 s92, s42, s28
	s_cmp_lt_i32 s38, 0
	s_cselect_b64 s[42:43], -1, 0
	v_addc_co_u32_e32 v29, vcc, 0, v1, vcc
	ds_read_b64 v[0:1], v0
	buffer_store_dword v30, off, s[0:3], s33 offset:364 ; 4-byte Folded Spill
	s_nop 0
	buffer_store_dword v31, off, s[0:3], s33 offset:368 ; 4-byte Folded Spill
	buffer_store_dword v17, off, s[0:3], s33 offset:296 ; 4-byte Folded Spill
	s_nop 0
	buffer_store_dword v18, off, s[0:3], s33 offset:300 ; 4-byte Folded Spill
	s_waitcnt lgkmcnt(0)
	v_add_co_u32_e32 v46, vcc, v0, v44
	v_addc_co_u32_e32 v47, vcc, 0, v1, vcc
	v_mov_b32_e32 v38, v18
	v_mov_b32_e32 v37, v17
.LBB6_568:                              ;   Parent Loop BB6_47 Depth=1
                                        ;     Parent Loop BB6_491 Depth=2
                                        ; =>    This Inner Loop Header: Depth=3
	buffer_store_dword v30, off, s[0:3], s33 offset:76 ; 4-byte Folded Spill
	s_nop 0
	buffer_store_dword v31, off, s[0:3], s33 offset:80 ; 4-byte Folded Spill
	buffer_load_dword v2, off, s[0:3], s33 offset:284 ; 4-byte Folded Reload
	v_mov_b32_e32 v43, v51
	s_waitcnt vmcnt(0)
	v_add_co_u32_e32 v0, vcc, v2, v37
	v_addc_co_u32_e32 v1, vcc, 0, v38, vcc
	buffer_store_dword v0, off, s[0:3], s33 offset:68 ; 4-byte Folded Spill
	s_nop 0
	buffer_store_dword v1, off, s[0:3], s33 offset:72 ; 4-byte Folded Spill
	v_add_co_u32_e32 v0, vcc, v2, v30
	v_addc_co_u32_e32 v1, vcc, 0, v31, vcc
	buffer_store_dword v0, off, s[0:3], s33 offset:60 ; 4-byte Folded Spill
	s_nop 0
	buffer_store_dword v1, off, s[0:3], s33 offset:64 ; 4-byte Folded Spill
	global_load_dwordx4 v[50:53], v[28:29], off glc slc
	global_load_dwordx4 v[24:27], v[28:29], off offset:1024 glc slc
	global_load_dwordx4 v[20:23], v[28:29], off offset:2048 glc slc
	global_load_dwordx4 v[12:15], v[28:29], off offset:3072 glc slc
	global_load_dwordx4 v[39:42], v[46:47], off glc slc
	global_load_dwordx4 v[32:35], v[46:47], off offset:1024 glc slc
	global_load_dwordx4 v[16:19], v[46:47], off offset:2048 glc slc
	;; [unrolled: 1-line block ×3, first 2 shown]
	s_waitcnt vmcnt(7)
	v_and_b32_e32 v0, 0xff00ff, v50
	s_waitcnt vmcnt(3)
	v_and_b32_e32 v1, 0xff00ff, v39
	v_add_u32_e32 v3, v1, v0
	v_and_b32_e32 v0, 0xff00ff00, v50
	v_and_b32_e32 v1, 0xff00ff00, v39
	v_add_u32_e32 v49, v1, v0
	v_and_b32_e32 v0, 0xff00ff, v51
	;; [unrolled: 3-line block ×8, first 2 shown]
	s_waitcnt vmcnt(2)
	v_and_b32_e32 v2, 0xff00ff, v32
	v_add_u32_e32 v0, v2, v0
	v_and_b32_e32 v2, 0xff00ff00, v24
	v_and_b32_e32 v4, 0xff00ff00, v32
	v_add_u32_e32 v54, v4, v2
	v_and_b32_e32 v2, 0xff00ff, v25
	;; [unrolled: 3-line block ×8, first 2 shown]
	s_waitcnt vmcnt(1)
	v_and_b32_e32 v4, 0xff00ff, v16
	v_add_u32_e32 v39, v4, v2
	v_and_b32_e32 v2, 0xff00ff00, v20
	v_and_b32_e32 v4, 0xff00ff00, v16
	v_add_u32_e32 v16, v4, v2
	v_perm_b32 v2, v16, v39, s64
	buffer_store_dword v2, off, s[0:3], s33 offset:104 ; 4-byte Folded Spill
	v_and_b32_e32 v2, 0xff00ff, v21
	v_and_b32_e32 v4, 0xff00ff, v17
	v_add_u32_e32 v51, v4, v2
	v_and_b32_e32 v2, 0xff00ff00, v21
	v_and_b32_e32 v4, 0xff00ff00, v17
	v_add_u32_e32 v17, v4, v2
	v_perm_b32 v2, v17, v51, s64
	buffer_store_dword v2, off, s[0:3], s33 offset:100 ; 4-byte Folded Spill
	v_and_b32_e32 v2, 0xff00ff, v22
	;; [unrolled: 8-line block ×3, first 2 shown]
	v_and_b32_e32 v4, 0xff00ff, v19
	v_add_u32_e32 v59, v4, v2
	v_and_b32_e32 v2, 0xff00ff00, v23
	v_and_b32_e32 v4, 0xff00ff00, v19
	v_add_u32_e32 v35, v4, v2
	v_and_b32_e32 v2, 0xff00ff, v12
	s_waitcnt vmcnt(3)
	v_and_b32_e32 v4, 0xff00ff, v8
	v_add_u32_e32 v34, v4, v2
	v_and_b32_e32 v2, 0xff00ff00, v12
	v_and_b32_e32 v4, 0xff00ff00, v8
	v_add_u32_e32 v22, v4, v2
	v_perm_b32 v2, v22, v34, s64
	buffer_store_dword v2, off, s[0:3], s33 offset:92 ; 4-byte Folded Spill
	v_and_b32_e32 v2, 0xff00ff, v13
	v_and_b32_e32 v4, 0xff00ff, v9
	v_add_u32_e32 v21, v4, v2
	v_and_b32_e32 v2, 0xff00ff00, v13
	v_and_b32_e32 v4, 0xff00ff00, v9
	v_add_u32_e32 v44, v4, v2
	;; [unrolled: 3-line block ×4, first 2 shown]
	v_perm_b32 v2, v52, v27, s64
	buffer_store_dword v2, off, s[0:3], s33 offset:88 ; 4-byte Folded Spill
	v_and_b32_e32 v2, 0xff00ff, v15
	v_and_b32_e32 v4, 0xff00ff, v11
	v_add_u32_e32 v23, v4, v2
	v_and_b32_e32 v2, 0xff00ff00, v15
	v_and_b32_e32 v4, 0xff00ff00, v11
	v_add_u32_e32 v42, v4, v2
	v_perm_b32 v2, v42, v23, s64
	v_cmp_lt_i16_sdwa s[28:29], sext(v3), v43 src0_sel:BYTE_0 src1_sel:DWORD
	buffer_store_dword v2, off, s[0:3], s33 offset:84 ; 4-byte Folded Spill
	s_and_b64 vcc, s[42:43], s[28:29]
	v_sub_u16_e32 v2, 0, v3
	v_cndmask_b32_e32 v2, v3, v2, vcc
	v_and_b32_e32 v2, 0xff, v2
	v_mul_hi_u32 v4, v2, s92
	v_perm_b32 v50, v49, v3, s64
	v_lshrrev_b32_e32 v3, 16, v3
	v_perm_b32 v48, v57, v6, s64
	v_mul_lo_u32 v8, s27, v4
	v_perm_b32 v31, v30, v56, s64
	v_perm_b32 v1, v40, v41, s64
	;; [unrolled: 1-line block ×3, first 2 shown]
	v_sub_u32_e32 v2, v2, v8
	v_cmp_le_u32_e64 s[28:29], s27, v2
	v_addc_co_u32_e64 v2, s[28:29], 0, v4, s[28:29]
	v_sub_u32_e32 v4, 0, v2
	v_and_b32_e32 v8, 0x8000, v50
	v_cndmask_b32_e32 v2, v2, v4, vcc
	v_lshrrev_b32_e32 v4, 8, v49
	v_cmp_ne_u32_e32 vcc, 0, v8
	s_and_b64 vcc, s[42:43], vcc
	v_sub_u16_e32 v8, 0, v4
	v_cndmask_b32_e32 v4, v4, v8, vcc
	v_and_b32_e32 v4, 0xff, v4
	v_mul_hi_u32 v8, v4, s92
	v_perm_b32 v33, v7, v36, s64
	v_perm_b32 v26, v24, v5, s64
	;; [unrolled: 1-line block ×3, first 2 shown]
	v_mul_lo_u32 v9, s27, v8
	v_perm_b32 v19, v35, v59, s64
	v_perm_b32 v61, v44, v21, s64
	buffer_load_dword v53, off, s[0:3], s33 offset:56 ; 4-byte Folded Reload
	v_sub_u32_e32 v4, v4, v9
	v_cmp_le_u32_e64 s[28:29], s27, v4
	v_addc_co_u32_e64 v4, s[28:29], 0, v8, s[28:29]
	v_sub_u32_e32 v8, 0, v4
	v_cmp_lt_i16_sdwa s[28:29], sext(v3), v43 src0_sel:BYTE_0 src1_sel:DWORD
	v_cndmask_b32_e32 v4, v4, v8, vcc
	s_and_b64 vcc, s[42:43], s[28:29]
	v_sub_u16_e32 v8, 0, v3
	v_cndmask_b32_e32 v3, v3, v8, vcc
	v_and_b32_e32 v3, 0xff, v3
	v_mul_hi_u32 v8, v3, s92
	v_lshlrev_b32_e32 v4, 8, v4
	v_perm_b32 v2, v4, v2, s99
	v_mul_lo_u32 v9, s27, v8
	v_sub_u32_e32 v3, v3, v9
	v_cmp_le_u32_e64 s[28:29], s27, v3
	v_addc_co_u32_e64 v3, s[28:29], 0, v8, s[28:29]
	v_sub_u32_e32 v8, 0, v3
	v_cndmask_b32_e32 v3, v3, v8, vcc
	v_lshrrev_b32_e32 v8, 24, v49
	v_and_b32_e32 v9, s38, v50
	v_cmp_lt_i32_e32 vcc, -1, v9
	v_sub_u16_e32 v9, 0, v8
	v_cndmask_b32_e32 v8, v9, v8, vcc
	v_and_b32_e32 v8, 0xff, v8
	v_mul_hi_u32 v9, v8, s92
	v_and_b32_e32 v3, 0xff, v3
	v_lshlrev_b32_e32 v3, 16, v3
	v_mul_lo_u32 v10, s27, v9
	v_sub_u32_e32 v8, v8, v10
	v_cmp_le_u32_e64 s[28:29], s27, v8
	v_addc_co_u32_e64 v8, s[28:29], 0, v9, s[28:29]
	v_sub_u32_e32 v9, 0, v8
	v_cndmask_b32_e32 v8, v9, v8, vcc
	v_lshlrev_b32_e32 v8, 24, v8
	v_cmp_lt_i16_sdwa s[28:29], sext(v6), v43 src0_sel:BYTE_0 src1_sel:DWORD
	v_or3_b32 v8, v8, v3, v2
	s_and_b64 vcc, s[42:43], s[28:29]
	v_sub_u16_e32 v2, 0, v6
	v_cndmask_b32_e32 v2, v6, v2, vcc
	v_and_b32_e32 v2, 0xff, v2
	v_mul_hi_u32 v3, v2, s92
	v_mul_lo_u32 v4, s27, v3
	v_sub_u32_e32 v2, v2, v4
	v_cmp_le_u32_e64 s[28:29], s27, v2
	v_addc_co_u32_e64 v2, s[28:29], 0, v3, s[28:29]
	v_sub_u32_e32 v3, 0, v2
	v_and_b32_e32 v4, 0x8000, v48
	v_cndmask_b32_e32 v2, v2, v3, vcc
	v_lshrrev_b32_e32 v3, 8, v57
	v_cmp_ne_u32_e32 vcc, 0, v4
	s_and_b64 vcc, s[42:43], vcc
	v_sub_u16_e32 v4, 0, v3
	v_cndmask_b32_e32 v3, v3, v4, vcc
	v_and_b32_e32 v3, 0xff, v3
	v_mul_hi_u32 v4, v3, s92
	v_mul_lo_u32 v9, s27, v4
	v_sub_u32_e32 v3, v3, v9
	v_cmp_le_u32_e64 s[28:29], s27, v3
	v_addc_co_u32_e64 v3, s[28:29], 0, v4, s[28:29]
	v_sub_u32_e32 v4, 0, v3
	v_cndmask_b32_e32 v3, v3, v4, vcc
	v_lshrrev_b32_e32 v4, 16, v6
	v_cmp_lt_i16_sdwa s[28:29], sext(v4), v43 src0_sel:BYTE_0 src1_sel:DWORD
	s_and_b64 vcc, s[42:43], s[28:29]
	v_sub_u16_e32 v6, 0, v4
	v_cndmask_b32_e32 v4, v4, v6, vcc
	v_and_b32_e32 v4, 0xff, v4
	v_mul_hi_u32 v6, v4, s92
	v_lshlrev_b32_e32 v3, 8, v3
	v_perm_b32 v2, v3, v2, s99
	v_mul_lo_u32 v9, s27, v6
	v_sub_u32_e32 v4, v4, v9
	v_cmp_le_u32_e64 s[28:29], s27, v4
	v_addc_co_u32_e64 v4, s[28:29], 0, v6, s[28:29]
	v_sub_u32_e32 v6, 0, v4
	v_cndmask_b32_e32 v4, v4, v6, vcc
	v_lshrrev_b32_e32 v6, 24, v57
	v_and_b32_e32 v9, s38, v48
	v_cmp_lt_i32_e32 vcc, -1, v9
	v_sub_u16_e32 v9, 0, v6
	v_cndmask_b32_e32 v6, v9, v6, vcc
	v_and_b32_e32 v6, 0xff, v6
	v_mul_hi_u32 v9, v6, s92
	v_and_b32_e32 v4, 0xff, v4
	v_lshlrev_b32_e32 v4, 16, v4
	v_mul_lo_u32 v10, s27, v9
	v_sub_u32_e32 v6, v6, v10
	v_cmp_le_u32_e64 s[28:29], s27, v6
	v_addc_co_u32_e64 v6, s[28:29], 0, v9, s[28:29]
	v_sub_u32_e32 v9, 0, v6
	v_cndmask_b32_e32 v6, v9, v6, vcc
	v_lshlrev_b32_e32 v6, 24, v6
	v_cmp_lt_i16_sdwa s[28:29], sext(v56), v43 src0_sel:BYTE_0 src1_sel:DWORD
	v_or3_b32 v9, v6, v4, v2
	s_and_b64 vcc, s[42:43], s[28:29]
	v_sub_u16_e32 v2, 0, v56
	v_cndmask_b32_e32 v2, v56, v2, vcc
	v_and_b32_e32 v2, 0xff, v2
	v_mul_hi_u32 v3, v2, s92
	v_mul_lo_u32 v4, s27, v3
	v_sub_u32_e32 v2, v2, v4
	v_cmp_le_u32_e64 s[28:29], s27, v2
	v_addc_co_u32_e64 v2, s[28:29], 0, v3, s[28:29]
	v_sub_u32_e32 v3, 0, v2
	v_and_b32_e32 v4, 0x8000, v31
	v_cndmask_b32_e32 v2, v2, v3, vcc
	v_lshrrev_b32_e32 v3, 8, v30
	v_cmp_ne_u32_e32 vcc, 0, v4
	s_and_b64 vcc, s[42:43], vcc
	v_sub_u16_e32 v4, 0, v3
	v_cndmask_b32_e32 v3, v3, v4, vcc
	v_and_b32_e32 v3, 0xff, v3
	v_mul_hi_u32 v4, v3, s92
	v_mul_lo_u32 v6, s27, v4
	v_sub_u32_e32 v3, v3, v6
	v_cmp_le_u32_e64 s[28:29], s27, v3
	v_addc_co_u32_e64 v3, s[28:29], 0, v4, s[28:29]
	v_sub_u32_e32 v4, 0, v3
	v_cndmask_b32_e32 v3, v3, v4, vcc
	v_lshrrev_b32_e32 v4, 16, v56
	v_cmp_lt_i16_sdwa s[28:29], sext(v4), v43 src0_sel:BYTE_0 src1_sel:DWORD
	s_and_b64 vcc, s[42:43], s[28:29]
	v_sub_u16_e32 v6, 0, v4
	v_cndmask_b32_e32 v4, v4, v6, vcc
	v_and_b32_e32 v4, 0xff, v4
	v_mul_hi_u32 v6, v4, s92
	v_lshlrev_b32_e32 v3, 8, v3
	v_perm_b32 v2, v3, v2, s99
	v_mul_lo_u32 v10, s27, v6
	v_sub_u32_e32 v4, v4, v10
	v_cmp_le_u32_e64 s[28:29], s27, v4
	v_addc_co_u32_e64 v4, s[28:29], 0, v6, s[28:29]
	v_sub_u32_e32 v6, 0, v4
	v_cndmask_b32_e32 v4, v4, v6, vcc
	v_lshrrev_b32_e32 v6, 24, v30
	v_and_b32_e32 v10, s38, v31
	v_cmp_lt_i32_e32 vcc, -1, v10
	v_sub_u16_e32 v10, 0, v6
	v_cndmask_b32_e32 v6, v10, v6, vcc
	v_and_b32_e32 v6, 0xff, v6
	v_mul_hi_u32 v10, v6, s92
	v_and_b32_e32 v4, 0xff, v4
	v_lshlrev_b32_e32 v4, 16, v4
	v_mul_lo_u32 v11, s27, v10
	v_sub_u32_e32 v6, v6, v11
	v_cmp_le_u32_e64 s[28:29], s27, v6
	v_addc_co_u32_e64 v6, s[28:29], 0, v10, s[28:29]
	v_sub_u32_e32 v10, 0, v6
	v_cndmask_b32_e32 v6, v10, v6, vcc
	v_lshlrev_b32_e32 v6, 24, v6
	v_cmp_lt_i16_sdwa s[28:29], sext(v41), v43 src0_sel:BYTE_0 src1_sel:DWORD
	v_or3_b32 v10, v6, v4, v2
	s_and_b64 vcc, s[42:43], s[28:29]
	v_sub_u16_e32 v2, 0, v41
	v_cndmask_b32_e32 v2, v41, v2, vcc
	v_and_b32_e32 v2, 0xff, v2
	v_mul_hi_u32 v3, v2, s92
	v_mul_lo_u32 v4, s27, v3
	v_sub_u32_e32 v2, v2, v4
	v_cmp_le_u32_e64 s[28:29], s27, v2
	v_addc_co_u32_e64 v2, s[28:29], 0, v3, s[28:29]
	v_sub_u32_e32 v3, 0, v2
	v_and_b32_e32 v4, 0x8000, v1
	v_cndmask_b32_e32 v2, v2, v3, vcc
	v_lshrrev_b32_e32 v3, 8, v40
	v_cmp_ne_u32_e32 vcc, 0, v4
	s_and_b64 vcc, s[42:43], vcc
	v_sub_u16_e32 v4, 0, v3
	v_cndmask_b32_e32 v3, v3, v4, vcc
	v_and_b32_e32 v3, 0xff, v3
	v_mul_hi_u32 v4, v3, s92
	v_and_b32_e32 v1, s38, v1
	v_mul_lo_u32 v6, s27, v4
	v_sub_u32_e32 v3, v3, v6
	v_cmp_le_u32_e64 s[28:29], s27, v3
	v_addc_co_u32_e64 v3, s[28:29], 0, v4, s[28:29]
	v_sub_u32_e32 v4, 0, v3
	v_cndmask_b32_e32 v3, v3, v4, vcc
	v_lshrrev_b32_e32 v4, 16, v41
	v_cmp_lt_i16_sdwa s[28:29], sext(v4), v43 src0_sel:BYTE_0 src1_sel:DWORD
	s_and_b64 vcc, s[42:43], s[28:29]
	v_sub_u16_e32 v6, 0, v4
	v_cndmask_b32_e32 v4, v4, v6, vcc
	v_and_b32_e32 v4, 0xff, v4
	v_mul_hi_u32 v6, v4, s92
	v_lshlrev_b32_e32 v3, 8, v3
	v_perm_b32 v2, v3, v2, s99
	v_mul_lo_u32 v11, s27, v6
	v_sub_u32_e32 v4, v4, v11
	v_cmp_le_u32_e64 s[28:29], s27, v4
	v_addc_co_u32_e64 v4, s[28:29], 0, v6, s[28:29]
	v_sub_u32_e32 v6, 0, v4
	v_cndmask_b32_e32 v4, v4, v6, vcc
	v_lshrrev_b32_e32 v6, 24, v40
	v_cmp_lt_i32_e32 vcc, -1, v1
	v_sub_u16_e32 v1, 0, v6
	v_cndmask_b32_e32 v1, v1, v6, vcc
	v_and_b32_e32 v1, 0xff, v1
	v_mul_hi_u32 v6, v1, s92
	v_and_b32_e32 v4, 0xff, v4
	v_lshlrev_b32_e32 v4, 16, v4
	v_mul_lo_u32 v11, s27, v6
	v_sub_u32_e32 v1, v1, v11
	v_cmp_le_u32_e64 s[28:29], s27, v1
	v_addc_co_u32_e64 v1, s[28:29], 0, v6, s[28:29]
	v_sub_u32_e32 v6, 0, v1
	v_cndmask_b32_e32 v1, v6, v1, vcc
	v_lshlrev_b32_e32 v1, 24, v1
	v_cmp_lt_i16_sdwa s[28:29], sext(v0), v43 src0_sel:BYTE_0 src1_sel:DWORD
	v_or3_b32 v11, v1, v4, v2
	s_and_b64 vcc, s[42:43], s[28:29]
	v_sub_u16_e32 v1, 0, v0
	v_cndmask_b32_e32 v1, v0, v1, vcc
	v_and_b32_e32 v1, 0xff, v1
	v_mul_hi_u32 v2, v1, s92
	v_lshrrev_b32_e32 v0, 16, v0
	v_mul_lo_u32 v3, s27, v2
	v_sub_u32_e32 v1, v1, v3
	v_cmp_le_u32_e64 s[28:29], s27, v1
	v_addc_co_u32_e64 v1, s[28:29], 0, v2, s[28:29]
	v_sub_u32_e32 v2, 0, v1
	v_and_b32_e32 v3, 0x8000, v32
	v_cndmask_b32_e32 v1, v1, v2, vcc
	v_lshrrev_b32_e32 v2, 8, v54
	v_cmp_ne_u32_e32 vcc, 0, v3
	s_and_b64 vcc, s[42:43], vcc
	v_sub_u16_e32 v3, 0, v2
	v_cndmask_b32_e32 v2, v2, v3, vcc
	v_and_b32_e32 v2, 0xff, v2
	v_mul_hi_u32 v3, v2, s92
	v_mul_lo_u32 v4, s27, v3
	v_sub_u32_e32 v2, v2, v4
	v_cmp_le_u32_e64 s[28:29], s27, v2
	v_addc_co_u32_e64 v2, s[28:29], 0, v3, s[28:29]
	v_sub_u32_e32 v3, 0, v2
	v_cmp_lt_i16_sdwa s[28:29], sext(v0), v43 src0_sel:BYTE_0 src1_sel:DWORD
	v_cndmask_b32_e32 v2, v2, v3, vcc
	s_and_b64 vcc, s[42:43], s[28:29]
	v_sub_u16_e32 v3, 0, v0
	v_cndmask_b32_e32 v0, v0, v3, vcc
	v_and_b32_e32 v0, 0xff, v0
	v_mul_hi_u32 v3, v0, s92
	v_lshlrev_b32_e32 v2, 8, v2
	v_perm_b32 v1, v2, v1, s99
	v_mul_lo_u32 v4, s27, v3
	v_sub_u32_e32 v0, v0, v4
	v_cmp_le_u32_e64 s[28:29], s27, v0
	v_addc_co_u32_e64 v0, s[28:29], 0, v3, s[28:29]
	v_sub_u32_e32 v3, 0, v0
	v_cndmask_b32_e32 v0, v0, v3, vcc
	v_lshrrev_b32_e32 v3, 24, v54
	v_and_b32_e32 v4, s38, v32
	v_cmp_lt_i32_e32 vcc, -1, v4
	v_sub_u16_e32 v4, 0, v3
	v_cndmask_b32_e32 v3, v4, v3, vcc
	v_and_b32_e32 v3, 0xff, v3
	v_mul_hi_u32 v4, v3, s92
	v_and_b32_e32 v0, 0xff, v0
	v_lshlrev_b32_e32 v0, 16, v0
	v_mul_lo_u32 v6, s27, v4
	v_sub_u32_e32 v3, v3, v6
	v_cmp_le_u32_e64 s[28:29], s27, v3
	v_addc_co_u32_e64 v3, s[28:29], 0, v4, s[28:29]
	v_sub_u32_e32 v4, 0, v3
	v_cndmask_b32_e32 v3, v4, v3, vcc
	v_lshlrev_b32_e32 v3, 24, v3
	v_cmp_lt_i16_sdwa s[28:29], sext(v36), v43 src0_sel:BYTE_0 src1_sel:DWORD
	v_or3_b32 v12, v3, v0, v1
	s_and_b64 vcc, s[42:43], s[28:29]
	v_sub_u16_e32 v0, 0, v36
	v_cndmask_b32_e32 v0, v36, v0, vcc
	v_and_b32_e32 v0, 0xff, v0
	v_mul_hi_u32 v1, v0, s92
	v_mul_lo_u32 v2, s27, v1
	v_sub_u32_e32 v0, v0, v2
	v_cmp_le_u32_e64 s[28:29], s27, v0
	v_addc_co_u32_e64 v0, s[28:29], 0, v1, s[28:29]
	v_sub_u32_e32 v1, 0, v0
	v_and_b32_e32 v2, 0x8000, v33
	v_cndmask_b32_e32 v0, v0, v1, vcc
	v_lshrrev_b32_e32 v1, 8, v7
	v_cmp_ne_u32_e32 vcc, 0, v2
	s_and_b64 vcc, s[42:43], vcc
	v_sub_u16_e32 v2, 0, v1
	v_cndmask_b32_e32 v1, v1, v2, vcc
	v_and_b32_e32 v1, 0xff, v1
	v_mul_hi_u32 v2, v1, s92
	v_mul_lo_u32 v3, s27, v2
	v_sub_u32_e32 v1, v1, v3
	v_cmp_le_u32_e64 s[28:29], s27, v1
	v_addc_co_u32_e64 v1, s[28:29], 0, v2, s[28:29]
	v_sub_u32_e32 v2, 0, v1
	v_cndmask_b32_e32 v1, v1, v2, vcc
	v_lshrrev_b32_e32 v2, 16, v36
	v_cmp_lt_i16_sdwa s[28:29], sext(v2), v43 src0_sel:BYTE_0 src1_sel:DWORD
	s_and_b64 vcc, s[42:43], s[28:29]
	v_sub_u16_e32 v3, 0, v2
	v_cndmask_b32_e32 v2, v2, v3, vcc
	v_and_b32_e32 v2, 0xff, v2
	v_mul_hi_u32 v3, v2, s92
	v_lshlrev_b32_e32 v1, 8, v1
	v_perm_b32 v0, v1, v0, s99
	v_mul_lo_u32 v4, s27, v3
	v_sub_u32_e32 v2, v2, v4
	v_cmp_le_u32_e64 s[28:29], s27, v2
	v_addc_co_u32_e64 v2, s[28:29], 0, v3, s[28:29]
	v_sub_u32_e32 v3, 0, v2
	v_cndmask_b32_e32 v2, v2, v3, vcc
	v_lshrrev_b32_e32 v3, 24, v7
	v_and_b32_e32 v4, s38, v33
	v_cmp_lt_i32_e32 vcc, -1, v4
	v_sub_u16_e32 v4, 0, v3
	v_cndmask_b32_e32 v3, v4, v3, vcc
	v_and_b32_e32 v3, 0xff, v3
	v_mul_hi_u32 v4, v3, s92
	v_and_b32_e32 v2, 0xff, v2
	v_lshlrev_b32_e32 v2, 16, v2
	buffer_load_dword v7, off, s[0:3], s33 offset:108 ; 4-byte Folded Reload
	v_mul_lo_u32 v6, s27, v4
	v_sub_u32_e32 v3, v3, v6
	v_cmp_le_u32_e64 s[28:29], s27, v3
	v_addc_co_u32_e64 v3, s[28:29], 0, v4, s[28:29]
	v_sub_u32_e32 v4, 0, v3
	v_cndmask_b32_e32 v3, v4, v3, vcc
	v_lshlrev_b32_e32 v3, 24, v3
	v_cmp_lt_i16_sdwa s[28:29], sext(v5), v43 src0_sel:BYTE_0 src1_sel:DWORD
	v_or3_b32 v13, v3, v2, v0
	s_and_b64 vcc, s[42:43], s[28:29]
	v_sub_u16_e32 v0, 0, v5
	v_cndmask_b32_e32 v0, v5, v0, vcc
	v_and_b32_e32 v0, 0xff, v0
	v_mul_hi_u32 v1, v0, s92
	v_mul_lo_u32 v2, s27, v1
	v_sub_u32_e32 v0, v0, v2
	v_cmp_le_u32_e64 s[28:29], s27, v0
	v_addc_co_u32_e64 v0, s[28:29], 0, v1, s[28:29]
	v_sub_u32_e32 v1, 0, v0
	v_and_b32_e32 v2, 0x8000, v26
	v_cndmask_b32_e32 v0, v0, v1, vcc
	v_lshrrev_b32_e32 v1, 8, v24
	v_cmp_ne_u32_e32 vcc, 0, v2
	s_and_b64 vcc, s[42:43], vcc
	v_sub_u16_e32 v2, 0, v1
	v_cndmask_b32_e32 v1, v1, v2, vcc
	v_and_b32_e32 v1, 0xff, v1
	v_mul_hi_u32 v2, v1, s92
	v_mul_lo_u32 v3, s27, v2
	v_sub_u32_e32 v1, v1, v3
	v_cmp_le_u32_e64 s[28:29], s27, v1
	v_addc_co_u32_e64 v1, s[28:29], 0, v2, s[28:29]
	v_sub_u32_e32 v2, 0, v1
	v_cndmask_b32_e32 v1, v1, v2, vcc
	v_lshrrev_b32_e32 v2, 16, v5
	v_cmp_lt_i16_sdwa s[28:29], sext(v2), v43 src0_sel:BYTE_0 src1_sel:DWORD
	s_and_b64 vcc, s[42:43], s[28:29]
	v_sub_u16_e32 v3, 0, v2
	v_cndmask_b32_e32 v2, v2, v3, vcc
	v_and_b32_e32 v2, 0xff, v2
	v_mul_hi_u32 v3, v2, s92
	v_lshlrev_b32_e32 v1, 8, v1
	v_perm_b32 v0, v1, v0, s99
	v_mul_lo_u32 v4, s27, v3
	v_sub_u32_e32 v2, v2, v4
	v_cmp_le_u32_e64 s[28:29], s27, v2
	v_addc_co_u32_e64 v2, s[28:29], 0, v3, s[28:29]
	v_sub_u32_e32 v3, 0, v2
	v_cndmask_b32_e32 v2, v2, v3, vcc
	v_lshrrev_b32_e32 v3, 24, v24
	v_and_b32_e32 v4, s38, v26
	v_cmp_lt_i32_e32 vcc, -1, v4
	v_sub_u16_e32 v4, 0, v3
	v_cndmask_b32_e32 v3, v4, v3, vcc
	v_and_b32_e32 v3, 0xff, v3
	v_mul_hi_u32 v4, v3, s92
	v_and_b32_e32 v2, 0xff, v2
	v_lshlrev_b32_e32 v2, 16, v2
	v_mul_lo_u32 v5, s27, v4
	v_sub_u32_e32 v3, v3, v5
	v_cmp_le_u32_e64 s[28:29], s27, v3
	v_addc_co_u32_e64 v3, s[28:29], 0, v4, s[28:29]
	v_sub_u32_e32 v4, 0, v3
	v_cndmask_b32_e32 v3, v4, v3, vcc
	v_lshlrev_b32_e32 v3, 24, v3
	v_cmp_lt_i16_sdwa s[28:29], sext(v55), v43 src0_sel:BYTE_0 src1_sel:DWORD
	v_or3_b32 v14, v3, v2, v0
	s_and_b64 vcc, s[42:43], s[28:29]
	v_sub_u16_e32 v0, 0, v55
	v_cndmask_b32_e32 v0, v55, v0, vcc
	v_and_b32_e32 v0, 0xff, v0
	v_mul_hi_u32 v1, v0, s92
	v_mul_lo_u32 v2, s27, v1
	v_sub_u32_e32 v0, v0, v2
	v_cmp_le_u32_e64 s[28:29], s27, v0
	v_addc_co_u32_e64 v0, s[28:29], 0, v1, s[28:29]
	v_sub_u32_e32 v1, 0, v0
	v_and_b32_e32 v2, 0x8000, v60
	v_cndmask_b32_e32 v0, v0, v1, vcc
	v_lshrrev_b32_e32 v1, 8, v25
	v_cmp_ne_u32_e32 vcc, 0, v2
	s_and_b64 vcc, s[42:43], vcc
	v_sub_u16_e32 v2, 0, v1
	v_cndmask_b32_e32 v1, v1, v2, vcc
	v_and_b32_e32 v1, 0xff, v1
	v_mul_hi_u32 v2, v1, s92
	v_mul_lo_u32 v3, s27, v2
	v_sub_u32_e32 v1, v1, v3
	v_cmp_le_u32_e64 s[28:29], s27, v1
	v_addc_co_u32_e64 v1, s[28:29], 0, v2, s[28:29]
	v_sub_u32_e32 v2, 0, v1
	v_cndmask_b32_e32 v1, v1, v2, vcc
	v_lshrrev_b32_e32 v2, 16, v55
	v_cmp_lt_i16_sdwa s[28:29], sext(v2), v43 src0_sel:BYTE_0 src1_sel:DWORD
	s_and_b64 vcc, s[42:43], s[28:29]
	v_sub_u16_e32 v3, 0, v2
	v_cndmask_b32_e32 v2, v2, v3, vcc
	v_and_b32_e32 v2, 0xff, v2
	v_mul_hi_u32 v3, v2, s92
	v_lshlrev_b32_e32 v1, 8, v1
	v_perm_b32 v0, v1, v0, s99
	v_mul_lo_u32 v4, s27, v3
	v_sub_u32_e32 v2, v2, v4
	v_and_b32_e32 v4, s38, v60
	buffer_load_dword v60, off, s[0:3], s33 offset:104 ; 4-byte Folded Reload
	v_cmp_le_u32_e64 s[28:29], s27, v2
	v_addc_co_u32_e64 v2, s[28:29], 0, v3, s[28:29]
	v_sub_u32_e32 v3, 0, v2
	v_cndmask_b32_e32 v2, v2, v3, vcc
	v_lshrrev_b32_e32 v3, 24, v25
	v_cmp_lt_i32_e32 vcc, -1, v4
	v_sub_u16_e32 v4, 0, v3
	v_cndmask_b32_e32 v3, v4, v3, vcc
	v_and_b32_e32 v3, 0xff, v3
	v_mul_hi_u32 v4, v3, s92
	v_and_b32_e32 v2, 0xff, v2
	v_lshlrev_b32_e32 v2, 16, v2
	v_mul_lo_u32 v5, s27, v4
	v_sub_u32_e32 v3, v3, v5
	v_cmp_le_u32_e64 s[28:29], s27, v3
	v_addc_co_u32_e64 v3, s[28:29], 0, v4, s[28:29]
	v_sub_u32_e32 v4, 0, v3
	v_cndmask_b32_e32 v3, v4, v3, vcc
	v_lshlrev_b32_e32 v3, 24, v3
	v_cmp_lt_i16_sdwa s[28:29], sext(v39), v43 src0_sel:BYTE_0 src1_sel:DWORD
	v_or3_b32 v15, v3, v2, v0
	s_and_b64 vcc, s[42:43], s[28:29]
	v_sub_u16_e32 v0, 0, v39
	v_cndmask_b32_e32 v0, v39, v0, vcc
	v_and_b32_e32 v0, 0xff, v0
	v_mul_hi_u32 v1, v0, s92
	v_mul_lo_u32 v2, s27, v1
	v_sub_u32_e32 v0, v0, v2
	v_cmp_le_u32_e64 s[28:29], s27, v0
	v_addc_co_u32_e64 v0, s[28:29], 0, v1, s[28:29]
	v_sub_u32_e32 v1, 0, v0
	v_cndmask_b32_e32 v0, v0, v1, vcc
	v_lshrrev_b32_e32 v1, 8, v16
	s_waitcnt vmcnt(0)
	v_and_b32_e32 v2, 0x8000, v60
	v_cmp_ne_u32_e32 vcc, 0, v2
	s_and_b64 vcc, s[42:43], vcc
	v_sub_u16_e32 v2, 0, v1
	v_cndmask_b32_e32 v1, v1, v2, vcc
	v_and_b32_e32 v1, 0xff, v1
	v_mul_hi_u32 v2, v1, s92
	v_mul_lo_u32 v3, s27, v2
	v_sub_u32_e32 v1, v1, v3
	v_cmp_le_u32_e64 s[28:29], s27, v1
	v_addc_co_u32_e64 v1, s[28:29], 0, v2, s[28:29]
	v_sub_u32_e32 v2, 0, v1
	v_cndmask_b32_e32 v1, v1, v2, vcc
	v_lshrrev_b32_e32 v2, 16, v39
	v_cmp_lt_i16_sdwa s[28:29], sext(v2), v43 src0_sel:BYTE_0 src1_sel:DWORD
	s_and_b64 vcc, s[42:43], s[28:29]
	v_sub_u16_e32 v3, 0, v2
	v_cndmask_b32_e32 v2, v2, v3, vcc
	v_and_b32_e32 v2, 0xff, v2
	v_mul_hi_u32 v3, v2, s92
	v_lshlrev_b32_e32 v1, 8, v1
	v_perm_b32 v0, v1, v0, s99
	v_mul_lo_u32 v4, s27, v3
	v_sub_u32_e32 v2, v2, v4
	v_and_b32_e32 v4, s38, v60
	buffer_load_dword v60, off, s[0:3], s33 offset:100 ; 4-byte Folded Reload
	v_cmp_le_u32_e64 s[28:29], s27, v2
	v_addc_co_u32_e64 v2, s[28:29], 0, v3, s[28:29]
	v_sub_u32_e32 v3, 0, v2
	v_cndmask_b32_e32 v2, v2, v3, vcc
	v_lshrrev_b32_e32 v3, 24, v16
	v_cmp_lt_i32_e32 vcc, -1, v4
	v_sub_u16_e32 v4, 0, v3
	v_cndmask_b32_e32 v3, v4, v3, vcc
	v_and_b32_e32 v3, 0xff, v3
	v_mul_hi_u32 v4, v3, s92
	v_and_b32_e32 v2, 0xff, v2
	v_lshlrev_b32_e32 v2, 16, v2
	v_mul_lo_u32 v5, s27, v4
	v_sub_u32_e32 v3, v3, v5
	v_cmp_le_u32_e64 s[28:29], s27, v3
	v_addc_co_u32_e64 v3, s[28:29], 0, v4, s[28:29]
	v_sub_u32_e32 v4, 0, v3
	v_cndmask_b32_e32 v3, v4, v3, vcc
	v_lshlrev_b32_e32 v3, 24, v3
	v_cmp_lt_i16_sdwa s[28:29], sext(v51), v43 src0_sel:BYTE_0 src1_sel:DWORD
	v_or3_b32 v16, v3, v2, v0
	s_and_b64 vcc, s[42:43], s[28:29]
	v_sub_u16_e32 v0, 0, v51
	v_cndmask_b32_e32 v0, v51, v0, vcc
	v_and_b32_e32 v0, 0xff, v0
	v_mul_hi_u32 v1, v0, s92
	v_mul_lo_u32 v2, s27, v1
	v_sub_u32_e32 v0, v0, v2
	v_cmp_le_u32_e64 s[28:29], s27, v0
	v_addc_co_u32_e64 v0, s[28:29], 0, v1, s[28:29]
	v_sub_u32_e32 v1, 0, v0
	v_cndmask_b32_e32 v0, v0, v1, vcc
	v_lshrrev_b32_e32 v1, 8, v17
	s_waitcnt vmcnt(0)
	v_and_b32_e32 v2, 0x8000, v60
	v_cmp_ne_u32_e32 vcc, 0, v2
	s_and_b64 vcc, s[42:43], vcc
	v_sub_u16_e32 v2, 0, v1
	v_cndmask_b32_e32 v1, v1, v2, vcc
	v_and_b32_e32 v1, 0xff, v1
	v_mul_hi_u32 v2, v1, s92
	v_mul_lo_u32 v3, s27, v2
	v_sub_u32_e32 v1, v1, v3
	v_cmp_le_u32_e64 s[28:29], s27, v1
	v_addc_co_u32_e64 v1, s[28:29], 0, v2, s[28:29]
	v_sub_u32_e32 v2, 0, v1
	v_cndmask_b32_e32 v1, v1, v2, vcc
	v_lshrrev_b32_e32 v2, 16, v51
	v_mov_b32_e32 v51, v43
	v_cmp_lt_i16_sdwa s[28:29], sext(v2), v51 src0_sel:BYTE_0 src1_sel:DWORD
	s_and_b64 vcc, s[42:43], s[28:29]
	v_sub_u16_e32 v3, 0, v2
	v_cndmask_b32_e32 v2, v2, v3, vcc
	v_and_b32_e32 v2, 0xff, v2
	v_mul_hi_u32 v3, v2, s92
	v_lshlrev_b32_e32 v1, 8, v1
	v_perm_b32 v0, v1, v0, s99
	v_mul_lo_u32 v4, s27, v3
	v_sub_u32_e32 v2, v2, v4
	v_and_b32_e32 v4, s38, v60
	buffer_load_dword v60, off, s[0:3], s33 offset:96 ; 4-byte Folded Reload
	v_cmp_le_u32_e64 s[28:29], s27, v2
	v_addc_co_u32_e64 v2, s[28:29], 0, v3, s[28:29]
	v_sub_u32_e32 v3, 0, v2
	v_cndmask_b32_e32 v2, v2, v3, vcc
	v_lshrrev_b32_e32 v3, 24, v17
	v_cmp_lt_i32_e32 vcc, -1, v4
	v_sub_u16_e32 v4, 0, v3
	v_cndmask_b32_e32 v3, v4, v3, vcc
	v_and_b32_e32 v3, 0xff, v3
	v_mul_hi_u32 v4, v3, s92
	v_and_b32_e32 v2, 0xff, v2
	v_lshlrev_b32_e32 v2, 16, v2
	v_mul_lo_u32 v5, s27, v4
	v_sub_u32_e32 v3, v3, v5
	v_cmp_le_u32_e64 s[28:29], s27, v3
	v_addc_co_u32_e64 v3, s[28:29], 0, v4, s[28:29]
	v_sub_u32_e32 v4, 0, v3
	v_cndmask_b32_e32 v3, v4, v3, vcc
	v_lshlrev_b32_e32 v3, 24, v3
	v_cmp_lt_i16_sdwa s[28:29], sext(v20), v51 src0_sel:BYTE_0 src1_sel:DWORD
	v_or3_b32 v17, v3, v2, v0
	s_and_b64 vcc, s[42:43], s[28:29]
	v_sub_u16_e32 v0, 0, v20
	v_cndmask_b32_e32 v0, v20, v0, vcc
	v_and_b32_e32 v0, 0xff, v0
	v_mul_hi_u32 v1, v0, s92
	v_mul_lo_u32 v2, s27, v1
	v_sub_u32_e32 v0, v0, v2
	v_cmp_le_u32_e64 s[28:29], s27, v0
	v_addc_co_u32_e64 v0, s[28:29], 0, v1, s[28:29]
	v_sub_u32_e32 v1, 0, v0
	v_cndmask_b32_e32 v0, v0, v1, vcc
	v_lshrrev_b32_e32 v1, 8, v18
	s_waitcnt vmcnt(0)
	v_and_b32_e32 v2, 0x8000, v60
	v_cmp_ne_u32_e32 vcc, 0, v2
	s_and_b64 vcc, s[42:43], vcc
	v_sub_u16_e32 v2, 0, v1
	v_cndmask_b32_e32 v1, v1, v2, vcc
	v_and_b32_e32 v1, 0xff, v1
	v_mul_hi_u32 v2, v1, s92
	v_mul_lo_u32 v3, s27, v2
	v_sub_u32_e32 v1, v1, v3
	v_cmp_le_u32_e64 s[28:29], s27, v1
	v_addc_co_u32_e64 v1, s[28:29], 0, v2, s[28:29]
	v_sub_u32_e32 v2, 0, v1
	v_cndmask_b32_e32 v1, v1, v2, vcc
	v_lshrrev_b32_e32 v2, 16, v20
	v_cmp_lt_i16_sdwa s[28:29], sext(v2), v51 src0_sel:BYTE_0 src1_sel:DWORD
	s_and_b64 vcc, s[42:43], s[28:29]
	v_sub_u16_e32 v3, 0, v2
	v_cndmask_b32_e32 v2, v2, v3, vcc
	v_and_b32_e32 v2, 0xff, v2
	v_mul_hi_u32 v3, v2, s92
	v_lshlrev_b32_e32 v1, 8, v1
	v_perm_b32 v0, v1, v0, s99
	v_mul_lo_u32 v4, s27, v3
	v_sub_u32_e32 v2, v2, v4
	v_cmp_le_u32_e64 s[28:29], s27, v2
	v_addc_co_u32_e64 v2, s[28:29], 0, v3, s[28:29]
	v_sub_u32_e32 v3, 0, v2
	v_cndmask_b32_e32 v2, v2, v3, vcc
	v_lshrrev_b32_e32 v3, 24, v18
	v_and_b32_e32 v4, s38, v60
	v_cmp_lt_i32_e32 vcc, -1, v4
	v_sub_u16_e32 v4, 0, v3
	v_cndmask_b32_e32 v3, v4, v3, vcc
	v_and_b32_e32 v3, 0xff, v3
	v_mul_hi_u32 v4, v3, s92
	v_and_b32_e32 v2, 0xff, v2
	v_lshlrev_b32_e32 v2, 16, v2
	buffer_load_dword v60, off, s[0:3], s33 offset:92 ; 4-byte Folded Reload
	v_mul_lo_u32 v5, s27, v4
	v_sub_u32_e32 v3, v3, v5
	v_cmp_le_u32_e64 s[28:29], s27, v3
	v_addc_co_u32_e64 v3, s[28:29], 0, v4, s[28:29]
	v_sub_u32_e32 v4, 0, v3
	v_cndmask_b32_e32 v3, v4, v3, vcc
	v_lshlrev_b32_e32 v3, 24, v3
	v_cmp_lt_i16_sdwa s[28:29], sext(v59), v51 src0_sel:BYTE_0 src1_sel:DWORD
	v_or3_b32 v18, v3, v2, v0
	s_and_b64 vcc, s[42:43], s[28:29]
	v_sub_u16_e32 v0, 0, v59
	v_cndmask_b32_e32 v0, v59, v0, vcc
	v_and_b32_e32 v0, 0xff, v0
	v_mul_hi_u32 v1, v0, s92
	v_mul_lo_u32 v2, s27, v1
	v_sub_u32_e32 v0, v0, v2
	v_cmp_le_u32_e64 s[28:29], s27, v0
	v_addc_co_u32_e64 v0, s[28:29], 0, v1, s[28:29]
	v_sub_u32_e32 v1, 0, v0
	v_and_b32_e32 v2, 0x8000, v19
	v_cndmask_b32_e32 v0, v0, v1, vcc
	v_lshrrev_b32_e32 v1, 8, v35
	v_cmp_ne_u32_e32 vcc, 0, v2
	s_and_b64 vcc, s[42:43], vcc
	v_sub_u16_e32 v2, 0, v1
	v_cndmask_b32_e32 v1, v1, v2, vcc
	v_and_b32_e32 v1, 0xff, v1
	v_mul_hi_u32 v2, v1, s92
	v_mul_lo_u32 v3, s27, v2
	v_sub_u32_e32 v1, v1, v3
	v_cmp_le_u32_e64 s[28:29], s27, v1
	v_addc_co_u32_e64 v1, s[28:29], 0, v2, s[28:29]
	v_sub_u32_e32 v2, 0, v1
	v_cndmask_b32_e32 v1, v1, v2, vcc
	v_lshrrev_b32_e32 v2, 16, v59
	v_cmp_lt_i16_sdwa s[28:29], sext(v2), v51 src0_sel:BYTE_0 src1_sel:DWORD
	s_and_b64 vcc, s[42:43], s[28:29]
	v_sub_u16_e32 v3, 0, v2
	v_cndmask_b32_e32 v2, v2, v3, vcc
	v_and_b32_e32 v2, 0xff, v2
	v_mul_hi_u32 v3, v2, s92
	v_lshlrev_b32_e32 v1, 8, v1
	v_perm_b32 v0, v1, v0, s99
	v_mul_lo_u32 v4, s27, v3
	v_sub_u32_e32 v2, v2, v4
	v_cmp_le_u32_e64 s[28:29], s27, v2
	v_addc_co_u32_e64 v2, s[28:29], 0, v3, s[28:29]
	v_sub_u32_e32 v3, 0, v2
	v_cndmask_b32_e32 v2, v2, v3, vcc
	v_lshrrev_b32_e32 v3, 24, v35
	v_and_b32_e32 v4, s38, v19
	v_cmp_lt_i32_e32 vcc, -1, v4
	v_sub_u16_e32 v4, 0, v3
	v_cndmask_b32_e32 v3, v4, v3, vcc
	v_and_b32_e32 v3, 0xff, v3
	v_mul_hi_u32 v4, v3, s92
	v_and_b32_e32 v2, 0xff, v2
	v_lshlrev_b32_e32 v2, 16, v2
	v_mul_lo_u32 v5, s27, v4
	v_sub_u32_e32 v3, v3, v5
	v_cmp_le_u32_e64 s[28:29], s27, v3
	v_addc_co_u32_e64 v3, s[28:29], 0, v4, s[28:29]
	v_sub_u32_e32 v4, 0, v3
	v_cndmask_b32_e32 v3, v4, v3, vcc
	v_lshlrev_b32_e32 v3, 24, v3
	v_cmp_lt_i16_sdwa s[28:29], sext(v34), v51 src0_sel:BYTE_0 src1_sel:DWORD
	v_or3_b32 v19, v3, v2, v0
	s_and_b64 vcc, s[42:43], s[28:29]
	v_sub_u16_e32 v0, 0, v34
	v_cndmask_b32_e32 v0, v34, v0, vcc
	v_and_b32_e32 v0, 0xff, v0
	v_mul_hi_u32 v1, v0, s92
	v_mul_lo_u32 v2, s27, v1
	v_sub_u32_e32 v0, v0, v2
	v_cmp_le_u32_e64 s[28:29], s27, v0
	v_addc_co_u32_e64 v0, s[28:29], 0, v1, s[28:29]
	v_sub_u32_e32 v1, 0, v0
	s_waitcnt vmcnt(0)
	v_and_b32_e32 v2, 0x8000, v60
	v_cndmask_b32_e32 v0, v0, v1, vcc
	v_lshrrev_b32_e32 v1, 8, v22
	v_cmp_ne_u32_e32 vcc, 0, v2
	s_and_b64 vcc, s[42:43], vcc
	v_sub_u16_e32 v2, 0, v1
	v_cndmask_b32_e32 v1, v1, v2, vcc
	v_and_b32_e32 v1, 0xff, v1
	v_mul_hi_u32 v2, v1, s92
	v_mul_lo_u32 v3, s27, v2
	v_sub_u32_e32 v1, v1, v3
	v_cmp_le_u32_e64 s[28:29], s27, v1
	v_addc_co_u32_e64 v1, s[28:29], 0, v2, s[28:29]
	v_sub_u32_e32 v2, 0, v1
	v_cndmask_b32_e32 v1, v1, v2, vcc
	v_lshrrev_b32_e32 v2, 16, v34
	v_cmp_lt_i16_sdwa s[28:29], sext(v2), v51 src0_sel:BYTE_0 src1_sel:DWORD
	s_and_b64 vcc, s[42:43], s[28:29]
	v_sub_u16_e32 v3, 0, v2
	v_cndmask_b32_e32 v2, v2, v3, vcc
	v_and_b32_e32 v2, 0xff, v2
	v_mul_hi_u32 v3, v2, s92
	v_lshlrev_b32_e32 v1, 8, v1
	v_perm_b32 v0, v1, v0, s99
	v_mul_lo_u32 v4, s27, v3
	v_sub_u32_e32 v2, v2, v4
	v_cmp_le_u32_e64 s[28:29], s27, v2
	v_addc_co_u32_e64 v2, s[28:29], 0, v3, s[28:29]
	v_sub_u32_e32 v3, 0, v2
	v_cndmask_b32_e32 v2, v2, v3, vcc
	v_lshrrev_b32_e32 v3, 24, v22
	v_and_b32_e32 v4, s38, v60
	v_cmp_lt_i32_e32 vcc, -1, v4
	v_sub_u16_e32 v4, 0, v3
	v_cndmask_b32_e32 v3, v4, v3, vcc
	v_and_b32_e32 v3, 0xff, v3
	v_mul_hi_u32 v4, v3, s92
	v_and_b32_e32 v2, 0xff, v2
	v_lshlrev_b32_e32 v2, 16, v2
	buffer_load_dword v60, off, s[0:3], s33 offset:84 ; 4-byte Folded Reload
	v_mul_lo_u32 v5, s27, v4
	v_sub_u32_e32 v58, v58, v53
	v_sub_u32_e32 v3, v3, v5
	v_cmp_le_u32_e64 s[28:29], s27, v3
	v_addc_co_u32_e64 v3, s[28:29], 0, v4, s[28:29]
	v_sub_u32_e32 v4, 0, v3
	v_cndmask_b32_e32 v3, v4, v3, vcc
	v_lshlrev_b32_e32 v3, 24, v3
	v_cmp_lt_i16_sdwa s[28:29], sext(v21), v51 src0_sel:BYTE_0 src1_sel:DWORD
	v_or3_b32 v20, v3, v2, v0
	s_and_b64 vcc, s[42:43], s[28:29]
	v_sub_u16_e32 v0, 0, v21
	v_cndmask_b32_e32 v0, v21, v0, vcc
	v_and_b32_e32 v0, 0xff, v0
	v_mul_hi_u32 v1, v0, s92
	v_mul_lo_u32 v2, s27, v1
	v_sub_u32_e32 v0, v0, v2
	v_cmp_le_u32_e64 s[28:29], s27, v0
	v_addc_co_u32_e64 v0, s[28:29], 0, v1, s[28:29]
	v_sub_u32_e32 v1, 0, v0
	v_and_b32_e32 v2, 0x8000, v61
	v_cndmask_b32_e32 v0, v0, v1, vcc
	v_lshrrev_b32_e32 v1, 8, v44
	v_cmp_ne_u32_e32 vcc, 0, v2
	s_and_b64 vcc, s[42:43], vcc
	v_sub_u16_e32 v2, 0, v1
	v_cndmask_b32_e32 v1, v1, v2, vcc
	v_and_b32_e32 v1, 0xff, v1
	v_mul_hi_u32 v2, v1, s92
	v_mul_lo_u32 v3, s27, v2
	v_sub_u32_e32 v1, v1, v3
	v_cmp_le_u32_e64 s[28:29], s27, v1
	v_addc_co_u32_e64 v1, s[28:29], 0, v2, s[28:29]
	v_sub_u32_e32 v2, 0, v1
	v_cndmask_b32_e32 v1, v1, v2, vcc
	v_lshrrev_b32_e32 v2, 16, v21
	v_cmp_lt_i16_sdwa s[28:29], sext(v2), v51 src0_sel:BYTE_0 src1_sel:DWORD
	s_and_b64 vcc, s[42:43], s[28:29]
	v_sub_u16_e32 v3, 0, v2
	v_cndmask_b32_e32 v2, v2, v3, vcc
	v_and_b32_e32 v2, 0xff, v2
	v_mul_hi_u32 v3, v2, s92
	v_lshlrev_b32_e32 v1, 8, v1
	v_perm_b32 v0, v1, v0, s99
	v_mul_lo_u32 v4, s27, v3
	v_sub_u32_e32 v2, v2, v4
	v_cmp_le_u32_e64 s[28:29], s27, v2
	v_addc_co_u32_e64 v2, s[28:29], 0, v3, s[28:29]
	v_sub_u32_e32 v3, 0, v2
	v_cndmask_b32_e32 v2, v2, v3, vcc
	v_lshrrev_b32_e32 v3, 24, v44
	buffer_load_dword v44, off, s[0:3], s33 offset:88 ; 4-byte Folded Reload
	v_and_b32_e32 v4, s38, v61
	v_cmp_lt_i32_e32 vcc, -1, v4
	v_sub_u16_e32 v4, 0, v3
	v_cndmask_b32_e32 v3, v4, v3, vcc
	v_and_b32_e32 v3, 0xff, v3
	v_mul_hi_u32 v4, v3, s92
	v_and_b32_e32 v2, 0xff, v2
	v_lshlrev_b32_e32 v2, 16, v2
	v_mul_lo_u32 v5, s27, v4
	v_sub_u32_e32 v3, v3, v5
	v_cmp_le_u32_e64 s[28:29], s27, v3
	v_addc_co_u32_e64 v3, s[28:29], 0, v4, s[28:29]
	v_sub_u32_e32 v4, 0, v3
	v_cndmask_b32_e32 v3, v4, v3, vcc
	v_lshlrev_b32_e32 v3, 24, v3
	v_cmp_lt_i16_sdwa s[28:29], sext(v27), v51 src0_sel:BYTE_0 src1_sel:DWORD
	v_or3_b32 v21, v3, v2, v0
	s_and_b64 vcc, s[42:43], s[28:29]
	v_sub_u16_e32 v0, 0, v27
	v_cndmask_b32_e32 v0, v27, v0, vcc
	v_and_b32_e32 v0, 0xff, v0
	v_mul_hi_u32 v1, v0, s92
	v_mul_lo_u32 v2, s27, v1
	v_sub_u32_e32 v0, v0, v2
	v_cmp_le_u32_e64 s[28:29], s27, v0
	v_addc_co_u32_e64 v0, s[28:29], 0, v1, s[28:29]
	v_sub_u32_e32 v1, 0, v0
	v_cndmask_b32_e32 v0, v0, v1, vcc
	v_lshrrev_b32_e32 v1, 8, v52
	s_waitcnt vmcnt(0)
	v_and_b32_e32 v2, 0x8000, v44
	v_cmp_ne_u32_e32 vcc, 0, v2
	s_and_b64 vcc, s[42:43], vcc
	v_sub_u16_e32 v2, 0, v1
	v_cndmask_b32_e32 v1, v1, v2, vcc
	v_and_b32_e32 v1, 0xff, v1
	v_mul_hi_u32 v2, v1, s92
	v_mul_lo_u32 v3, s27, v2
	v_sub_u32_e32 v1, v1, v3
	v_cmp_le_u32_e64 s[28:29], s27, v1
	v_addc_co_u32_e64 v1, s[28:29], 0, v2, s[28:29]
	v_sub_u32_e32 v2, 0, v1
	v_cndmask_b32_e32 v1, v1, v2, vcc
	v_lshrrev_b32_e32 v2, 16, v27
	v_cmp_lt_i16_sdwa s[28:29], sext(v2), v51 src0_sel:BYTE_0 src1_sel:DWORD
	s_and_b64 vcc, s[42:43], s[28:29]
	v_sub_u16_e32 v3, 0, v2
	v_cndmask_b32_e32 v2, v2, v3, vcc
	v_and_b32_e32 v2, 0xff, v2
	v_mul_hi_u32 v3, v2, s92
	v_lshlrev_b32_e32 v1, 8, v1
	v_perm_b32 v0, v1, v0, s99
	v_mul_lo_u32 v4, s27, v3
	v_sub_u32_e32 v2, v2, v4
	v_cmp_le_u32_e64 s[28:29], s27, v2
	v_addc_co_u32_e64 v2, s[28:29], 0, v3, s[28:29]
	v_sub_u32_e32 v3, 0, v2
	v_cndmask_b32_e32 v2, v2, v3, vcc
	v_lshrrev_b32_e32 v3, 24, v52
	v_and_b32_e32 v4, s38, v44
	v_cmp_lt_i32_e32 vcc, -1, v4
	v_sub_u16_e32 v4, 0, v3
	v_cndmask_b32_e32 v3, v4, v3, vcc
	v_and_b32_e32 v3, 0xff, v3
	v_mul_hi_u32 v4, v3, s92
	v_and_b32_e32 v2, 0xff, v2
	v_lshlrev_b32_e32 v2, 16, v2
	v_mul_lo_u32 v5, s27, v4
	v_sub_u32_e32 v3, v3, v5
	v_cmp_le_u32_e64 s[28:29], s27, v3
	v_addc_co_u32_e64 v3, s[28:29], 0, v4, s[28:29]
	v_sub_u32_e32 v4, 0, v3
	v_cndmask_b32_e32 v3, v4, v3, vcc
	v_lshlrev_b32_e32 v3, 24, v3
	v_cmp_lt_i16_sdwa s[28:29], sext(v23), v51 src0_sel:BYTE_0 src1_sel:DWORD
	v_or3_b32 v22, v3, v2, v0
	s_and_b64 vcc, s[42:43], s[28:29]
	v_sub_u16_e32 v0, 0, v23
	v_cndmask_b32_e32 v0, v23, v0, vcc
	v_and_b32_e32 v0, 0xff, v0
	v_mul_hi_u32 v1, v0, s92
	v_mul_lo_u32 v2, s27, v1
	v_sub_u32_e32 v0, v0, v2
	v_cmp_le_u32_e64 s[28:29], s27, v0
	v_addc_co_u32_e64 v0, s[28:29], 0, v1, s[28:29]
	v_sub_u32_e32 v1, 0, v0
	v_and_b32_e32 v2, 0x8000, v60
	v_cndmask_b32_e32 v0, v0, v1, vcc
	v_lshrrev_b32_e32 v1, 8, v42
	v_cmp_ne_u32_e32 vcc, 0, v2
	s_and_b64 vcc, s[42:43], vcc
	v_sub_u16_e32 v2, 0, v1
	v_cndmask_b32_e32 v1, v1, v2, vcc
	v_and_b32_e32 v1, 0xff, v1
	v_mul_hi_u32 v2, v1, s92
	v_mul_lo_u32 v3, s27, v2
	v_sub_u32_e32 v1, v1, v3
	v_cmp_le_u32_e64 s[28:29], s27, v1
	v_addc_co_u32_e64 v1, s[28:29], 0, v2, s[28:29]
	v_sub_u32_e32 v2, 0, v1
	v_cndmask_b32_e32 v1, v1, v2, vcc
	v_lshrrev_b32_e32 v2, 16, v23
	v_cmp_lt_i16_sdwa s[28:29], sext(v2), v51 src0_sel:BYTE_0 src1_sel:DWORD
	s_and_b64 vcc, s[42:43], s[28:29]
	v_sub_u16_e32 v3, 0, v2
	v_cndmask_b32_e32 v2, v2, v3, vcc
	v_and_b32_e32 v2, 0xff, v2
	v_mul_hi_u32 v3, v2, s92
	v_lshlrev_b32_e32 v1, 8, v1
	v_perm_b32 v0, v1, v0, s99
	v_mul_lo_u32 v4, s27, v3
	v_sub_u32_e32 v2, v2, v4
	v_cmp_le_u32_e64 s[28:29], s27, v2
	v_addc_co_u32_e64 v2, s[28:29], 0, v3, s[28:29]
	v_sub_u32_e32 v3, 0, v2
	v_cndmask_b32_e32 v2, v2, v3, vcc
	v_and_b32_e32 v5, 0xff, v2
	v_lshrrev_b32_e32 v2, 24, v42
	v_and_b32_e32 v3, s38, v60
	v_cmp_lt_i32_e32 vcc, -1, v3
	v_sub_u16_e32 v3, 0, v2
	v_cndmask_b32_e32 v6, v3, v2, vcc
	v_and_b32_e32 v2, 0xff, v6
	v_mul_hi_u32 v3, v2, s92
	v_mul_lo_u32 v4, s27, v3
	v_sub_u32_e32 v4, v2, v4
	v_cmp_le_u32_e64 s[28:29], s27, v4
	v_addc_co_u32_e64 v2, s[28:29], 0, v3, s[28:29]
	v_sub_u32_e32 v3, 0, v2
	v_cndmask_b32_e32 v2, v3, v2, vcc
	v_lshlrev_b32_e32 v3, 16, v5
	v_lshlrev_b32_e32 v2, 24, v2
	v_or3_b32 v23, v2, v3, v0
	buffer_load_dword v30, off, s[0:3], s33 offset:76 ; 4-byte Folded Reload
	buffer_load_dword v31, off, s[0:3], s33 offset:80 ; 4-byte Folded Reload
	;; [unrolled: 1-line block ×4, first 2 shown]
	s_waitcnt vmcnt(0)
	global_store_dwordx4 v[0:1], v[8:11], off glc slc
	global_store_dwordx4 v[0:1], v[12:15], off offset:1024 glc slc
	global_store_dwordx4 v[0:1], v[16:19], off offset:2048 glc slc
	;; [unrolled: 1-line block ×3, first 2 shown]
	buffer_load_dword v0, off, s[0:3], s33 offset:60 ; 4-byte Folded Reload
	s_nop 0
	buffer_load_dword v1, off, s[0:3], s33 offset:64 ; 4-byte Folded Reload
	v_add_co_u32_e32 v28, vcc, v28, v7
	v_addc_co_u32_e32 v29, vcc, 0, v29, vcc
	v_add_co_u32_e32 v46, vcc, v46, v7
	v_addc_co_u32_e32 v47, vcc, 0, v47, vcc
	v_add_co_u32_e32 v37, vcc, v37, v7
	v_addc_co_u32_e32 v38, vcc, 0, v38, vcc
	v_add_co_u32_e32 v30, vcc, v30, v7
	v_addc_co_u32_e32 v31, vcc, 0, v31, vcc
	v_cmp_gt_i32_e32 vcc, 1, v58
	s_or_b64 s[90:91], vcc, s[90:91]
	s_waitcnt vmcnt(0)
	global_store_dwordx4 v[0:1], v[8:11], off glc slc
	global_store_dwordx4 v[0:1], v[12:15], off offset:1024 glc slc
	global_store_dwordx4 v[0:1], v[16:19], off offset:2048 glc slc
	;; [unrolled: 1-line block ×3, first 2 shown]
	s_andn2_b64 exec, exec, s[90:91]
	s_cbranch_execnz .LBB6_568
; %bb.569:                              ;   in Loop: Header=BB6_491 Depth=2
	s_or_b64 exec, exec, s[90:91]
	buffer_load_dword v42, off, s[0:3], s33 offset:288 ; 4-byte Folded Reload
	buffer_load_dword v43, off, s[0:3], s33 offset:292 ; 4-byte Folded Reload
	;; [unrolled: 1-line block ×38, first 2 shown]
	v_mov_b32_e32 v54, 1
	v_mov_b32_e32 v26, 0xc8
	;; [unrolled: 1-line block ×3, first 2 shown]
.LBB6_570:                              ;   in Loop: Header=BB6_491 Depth=2
	s_or_b64 exec, exec, s[40:41]
	s_waitcnt vmcnt(0)
	v_lshlrev_b32_e32 v1, 12, v1
	v_cmp_ne_u32_e32 vcc, v47, v1
                                        ; implicit-def: $vgpr4
                                        ; implicit-def: $vgpr6
                                        ; implicit-def: $vgpr3
	s_and_saveexec_b64 s[90:91], vcc
	s_cbranch_execz .LBB6_578
; %bb.571:                              ;   in Loop: Header=BB6_491 Depth=2
	buffer_load_dword v2, off, s[0:3], s33 offset:340 ; 4-byte Folded Reload
	v_lshlrev_b32_e32 v0, 6, v58
	v_sub_u32_e32 v4, v47, v1
	s_waitcnt vmcnt(0)
	v_sub_u32_e32 v0, v2, v0
	v_ashrrev_i32_e32 v2, 31, v0
	v_lshrrev_b32_e32 v2, 26, v2
	v_add_u32_e32 v2, v0, v2
	v_ashrrev_i32_e32 v5, 6, v2
	v_and_b32_e32 v2, 0xffffffc0, v2
	v_sub_u32_e32 v3, v0, v2
	v_lshlrev_b32_e32 v0, 4, v3
	v_lshl_add_u32 v2, v5, 10, v0
	v_ashrrev_i32_e32 v0, 31, v4
	v_lshrrev_b32_e32 v0, 22, v0
	v_add_u32_e32 v0, v4, v0
	v_ashrrev_i32_e32 v7, 10, v0
	v_and_b32_e32 v0, 0xfffffc00, v0
	v_sub_u32_e32 v6, v4, v2
	v_sub_u32_e32 v4, v4, v0
	v_cmp_lt_i32_e64 s[28:29], 15, v4
	v_addc_co_u32_e64 v7, vcc, 0, v7, s[28:29]
	v_sub_u32_e32 v5, v7, v5
	v_cmp_lt_i32_e32 vcc, 15, v6
	s_and_saveexec_b64 s[92:93], vcc
	s_cbranch_execz .LBB6_577
; %bb.572:                              ;   in Loop: Header=BB6_491 Depth=2
	v_cvt_f32_u32_e32 v7, s27
	s_sub_i32 s40, 0, s27
	buffer_store_dword v15, off, s[0:3], s33 offset:136 ; 4-byte Folded Spill
	s_nop 0
	buffer_store_dword v16, off, s[0:3], s33 offset:140 ; 4-byte Folded Spill
	s_trap 2
	v_rcp_iflag_f32_e32 v7, v7
	v_add_u32_e32 v2, v2, v1
	v_ashrrev_i32_e32 v10, 31, v2
	v_add_co_u32_e32 v12, vcc, v2, v28
	v_mul_f32_e32 v7, 0x4f7ffffe, v7
	v_cvt_u32_f32_e32 v9, v7
	ds_read_b64 v[7:8], v0
	v_addc_co_u32_e32 v13, vcc, v10, v29, vcc
	v_readfirstlane_b32 s41, v9
	s_mul_i32 s40, s40, s41
	s_mul_hi_u32 s40, s41, s40
	s_add_i32 s41, s41, s40
	s_mul_hi_u32 s40, s41, -1
	s_mul_i32 s41, s40, s27
	s_not_b32 s41, s41
	s_add_i32 s42, s40, 1
	s_sub_i32 s43, s41, s27
	v_mov_b32_e32 v44, v14
	s_cmp_ge_u32 s41, s27
	s_waitcnt lgkmcnt(0)
	v_add_co_u32_e32 v14, vcc, v7, v2
	s_cselect_b32 s40, s42, s40
	v_addc_co_u32_e32 v15, vcc, v8, v10, vcc
	s_cselect_b32 s41, s43, s41
	s_add_i32 s42, s40, 1
	v_add_co_u32_e32 v7, vcc, v2, v17
	s_cmp_ge_u32 s41, s27
	v_mov_b32_e32 v59, v18
	v_addc_co_u32_e32 v16, vcc, v10, v18, vcc
	v_mov_b32_e32 v8, v30
	s_cselect_b32 s39, s42, s40
	v_mov_b32_e32 v61, v29
	v_mov_b32_e32 v58, v17
	v_mov_b32_e32 v9, v31
	v_add_co_u32_e32 v17, vcc, v2, v8
	s_cmp_lt_i32 s38, 0
	v_mov_b32_e32 v60, v28
	v_addc_co_u32_e32 v18, vcc, v10, v9, vcc
	s_cselect_b64 s[94:95], -1, 0
	s_mov_b64 s[30:31], 0
.LBB6_573:                              ;   Parent Loop BB6_47 Depth=1
                                        ;     Parent Loop BB6_491 Depth=2
                                        ; =>    This Loop Header: Depth=3
                                        ;         Child Loop BB6_574 Depth 4
	global_load_dwordx4 v[8:11], v[12:13], off glc slc
	global_load_dwordx4 v[19:22], v[14:15], off glc slc
	s_mov_b64 s[34:35], -1
	s_mov_b64 s[36:37], 0
	s_waitcnt vmcnt(0)
	v_and_b32_e32 v2, 0xff00ff, v19
	v_and_b32_e32 v27, 0xff00ff, v22
	;; [unrolled: 1-line block ×5, first 2 shown]
	v_add_u32_e32 v25, v2, v22
	v_and_b32_e32 v2, 0xff00ff00, v8
	v_and_b32_e32 v23, 0xff00ff, v20
	v_add_u32_e32 v2, v19, v2
	v_and_b32_e32 v19, 0xff00ff, v9
	v_and_b32_e32 v26, 0xff00ff, v21
	v_add_u32_e32 v24, v23, v19
	v_and_b32_e32 v19, 0xff00ff, v10
	v_cmp_lt_i16_sdwa s[40:41], sext(v25), v51 src0_sel:BYTE_0 src1_sel:DWORD
	v_add_u32_e32 v22, v26, v19
	s_and_b64 vcc, s[94:95], s[40:41]
	v_sub_u16_e32 v26, 0, v25
	v_cndmask_b32_e32 v26, v25, v26, vcc
	v_and_b32_e32 v20, 0xff00ff00, v20
	v_and_b32_e32 v9, 0xff00ff00, v9
	;; [unrolled: 1-line block ×4, first 2 shown]
	v_add_u32_e32 v9, v20, v9
	v_add_u32_e32 v20, v27, v19
	v_mul_hi_u32 v27, v26, s39
	v_and_b32_e32 v11, 0xff00ff00, v11
	v_add_u32_e32 v11, v28, v11
	v_perm_b32 v8, v2, v25, s64
	v_mul_lo_u32 v28, s27, v27
	v_lshrrev_b32_e32 v25, 16, v25
	v_perm_b32 v23, v9, v24, s64
	v_and_b32_e32 v21, 0xff00ff00, v21
	v_sub_u32_e32 v26, v26, v28
	v_cmp_le_u32_e64 s[40:41], s27, v26
	v_addc_co_u32_e64 v26, s[40:41], 0, v27, s[40:41]
	v_sub_u32_e32 v27, 0, v26
	v_and_b32_e32 v28, 0x8000, v8
	v_cndmask_b32_e32 v26, v26, v27, vcc
	v_lshrrev_b32_e32 v27, 8, v2
	v_cmp_ne_u32_e32 vcc, 0, v28
	s_and_b64 vcc, s[94:95], vcc
	v_sub_u16_e32 v28, 0, v27
	v_cndmask_b32_e32 v27, v27, v28, vcc
	v_and_b32_e32 v27, 0xff, v27
	v_mul_hi_u32 v28, v27, s39
	v_lshrrev_b32_e32 v2, 24, v2
	v_and_b32_e32 v8, s38, v8
	v_and_b32_e32 v10, 0xff00ff00, v10
	v_mul_lo_u32 v29, s27, v28
	v_add_u32_e32 v10, v21, v10
	v_perm_b32 v21, v10, v22, s64
	v_perm_b32 v19, v11, v20, s64
	v_sub_u32_e32 v27, v27, v29
	v_cmp_le_u32_e64 s[40:41], s27, v27
	v_addc_co_u32_e64 v27, s[40:41], 0, v28, s[40:41]
	v_sub_u32_e32 v28, 0, v27
	v_cmp_lt_i16_sdwa s[40:41], sext(v25), v51 src0_sel:BYTE_0 src1_sel:DWORD
	v_cndmask_b32_e32 v27, v27, v28, vcc
	s_and_b64 vcc, s[94:95], s[40:41]
	v_sub_u16_e32 v28, 0, v25
	v_cndmask_b32_e32 v25, v25, v28, vcc
	v_and_b32_e32 v25, 0xff, v25
	v_mul_hi_u32 v28, v25, s39
	v_lshlrev_b32_e32 v27, 8, v27
	v_mul_lo_u32 v29, s27, v28
	v_sub_u32_e32 v25, v25, v29
	v_cmp_le_u32_e64 s[40:41], s27, v25
	v_addc_co_u32_e64 v25, s[40:41], 0, v28, s[40:41]
	v_sub_u32_e32 v28, 0, v25
	v_cndmask_b32_e32 v25, v25, v28, vcc
	v_cmp_lt_i32_e32 vcc, -1, v8
	v_sub_u16_e32 v8, 0, v2
	v_cndmask_b32_e32 v2, v8, v2, vcc
	v_and_b32_e32 v2, 0xff, v2
	v_mul_hi_u32 v8, v2, s39
	v_and_b32_e32 v25, 0xff, v25
	v_mul_lo_u32 v28, s27, v8
	v_sub_u32_e32 v2, v2, v28
	v_cmp_le_u32_e64 s[40:41], s27, v2
	v_addc_co_u32_e64 v2, s[40:41], 0, v8, s[40:41]
	v_sub_u32_e32 v8, 0, v2
	v_cndmask_b32_e32 v2, v8, v2, vcc
	v_lshlrev_b32_e32 v8, 16, v25
	v_lshlrev_b32_e32 v2, 24, v2
	v_perm_b32 v25, v27, v26, s99
	v_cmp_lt_i16_sdwa s[40:41], sext(v24), v51 src0_sel:BYTE_0 src1_sel:DWORD
	v_or3_b32 v8, v2, v8, v25
	s_and_b64 vcc, s[94:95], s[40:41]
	v_sub_u16_e32 v2, 0, v24
	v_cndmask_b32_e32 v2, v24, v2, vcc
	v_and_b32_e32 v2, 0xff, v2
	v_mul_hi_u32 v25, v2, s39
	v_lshrrev_b32_e32 v24, 16, v24
	v_mul_lo_u32 v26, s27, v25
	v_sub_u32_e32 v2, v2, v26
	v_cmp_le_u32_e64 s[40:41], s27, v2
	v_addc_co_u32_e64 v2, s[40:41], 0, v25, s[40:41]
	v_sub_u32_e32 v25, 0, v2
	v_and_b32_e32 v26, 0x8000, v23
	v_cndmask_b32_e32 v25, v2, v25, vcc
	v_lshrrev_b32_e32 v2, 8, v9
	v_cmp_ne_u32_e32 vcc, 0, v26
	s_and_b64 vcc, s[94:95], vcc
	v_sub_u16_e32 v26, 0, v2
	v_cndmask_b32_e32 v2, v2, v26, vcc
	v_and_b32_e32 v2, 0xff, v2
	v_mul_hi_u32 v26, v2, s39
	v_lshrrev_b32_e32 v9, 24, v9
	v_and_b32_e32 v23, s38, v23
	v_mul_lo_u32 v27, s27, v26
	v_sub_u32_e32 v2, v2, v27
	v_cmp_le_u32_e64 s[40:41], s27, v2
	v_addc_co_u32_e64 v2, s[40:41], 0, v26, s[40:41]
	v_sub_u32_e32 v26, 0, v2
	v_cmp_lt_i16_sdwa s[40:41], sext(v24), v51 src0_sel:BYTE_0 src1_sel:DWORD
	v_cndmask_b32_e32 v2, v2, v26, vcc
	s_and_b64 vcc, s[94:95], s[40:41]
	v_sub_u16_e32 v26, 0, v24
	v_cndmask_b32_e32 v24, v24, v26, vcc
	v_and_b32_e32 v24, 0xff, v24
	v_mul_hi_u32 v26, v24, s39
	v_lshlrev_b32_e32 v2, 8, v2
	v_perm_b32 v2, v2, v25, s99
	v_mul_lo_u32 v27, s27, v26
	v_sub_u32_e32 v24, v24, v27
	v_cmp_le_u32_e64 s[40:41], s27, v24
	v_addc_co_u32_e64 v24, s[40:41], 0, v26, s[40:41]
	v_sub_u32_e32 v26, 0, v24
	v_cndmask_b32_e32 v24, v24, v26, vcc
	v_cmp_lt_i32_e32 vcc, -1, v23
	v_sub_u16_e32 v23, 0, v9
	v_cndmask_b32_e32 v9, v23, v9, vcc
	v_and_b32_e32 v9, 0xff, v9
	v_mul_hi_u32 v23, v9, s39
	v_and_b32_e32 v24, 0xff, v24
	v_mul_lo_u32 v26, s27, v23
	v_sub_u32_e32 v9, v9, v26
	v_cmp_le_u32_e64 s[40:41], s27, v9
	v_addc_co_u32_e64 v9, s[40:41], 0, v23, s[40:41]
	v_sub_u32_e32 v23, 0, v9
	v_cndmask_b32_e32 v9, v23, v9, vcc
	v_lshlrev_b32_e32 v23, 16, v24
	v_lshlrev_b32_e32 v9, 24, v9
	v_cmp_lt_i16_sdwa s[40:41], sext(v22), v51 src0_sel:BYTE_0 src1_sel:DWORD
	v_or3_b32 v9, v9, v23, v2
	s_and_b64 vcc, s[94:95], s[40:41]
	v_sub_u16_e32 v2, 0, v22
	v_cndmask_b32_e32 v2, v22, v2, vcc
	v_and_b32_e32 v2, 0xff, v2
	v_mul_hi_u32 v23, v2, s39
	v_lshrrev_b32_e32 v22, 16, v22
	v_mul_lo_u32 v24, s27, v23
	v_sub_u32_e32 v2, v2, v24
	v_cmp_le_u32_e64 s[40:41], s27, v2
	v_addc_co_u32_e64 v2, s[40:41], 0, v23, s[40:41]
	v_sub_u32_e32 v23, 0, v2
	v_and_b32_e32 v24, 0x8000, v21
	v_cndmask_b32_e32 v2, v2, v23, vcc
	v_lshrrev_b32_e32 v23, 8, v10
	v_cmp_ne_u32_e32 vcc, 0, v24
	s_and_b64 vcc, s[94:95], vcc
	v_sub_u16_e32 v24, 0, v23
	v_cndmask_b32_e32 v23, v23, v24, vcc
	v_and_b32_e32 v23, 0xff, v23
	v_mul_hi_u32 v24, v23, s39
	v_lshrrev_b32_e32 v10, 24, v10
	v_and_b32_e32 v21, s38, v21
	v_mul_lo_u32 v25, s27, v24
	v_sub_u32_e32 v23, v23, v25
	v_cmp_le_u32_e64 s[40:41], s27, v23
	v_addc_co_u32_e64 v23, s[40:41], 0, v24, s[40:41]
	v_sub_u32_e32 v24, 0, v23
	v_cmp_lt_i16_sdwa s[40:41], sext(v22), v51 src0_sel:BYTE_0 src1_sel:DWORD
	v_cndmask_b32_e32 v23, v23, v24, vcc
	s_and_b64 vcc, s[94:95], s[40:41]
	v_sub_u16_e32 v24, 0, v22
	v_cndmask_b32_e32 v22, v22, v24, vcc
	v_and_b32_e32 v22, 0xff, v22
	v_mul_hi_u32 v24, v22, s39
	v_lshlrev_b32_e32 v23, 8, v23
	v_perm_b32 v2, v23, v2, s99
	v_mul_lo_u32 v25, s27, v24
	v_sub_u32_e32 v22, v22, v25
	v_cmp_le_u32_e64 s[40:41], s27, v22
	v_addc_co_u32_e64 v22, s[40:41], 0, v24, s[40:41]
	v_sub_u32_e32 v24, 0, v22
	v_cndmask_b32_e32 v22, v22, v24, vcc
	v_cmp_lt_i32_e32 vcc, -1, v21
	v_sub_u16_e32 v21, 0, v10
	v_cndmask_b32_e32 v10, v21, v10, vcc
	v_and_b32_e32 v10, 0xff, v10
	v_mul_hi_u32 v21, v10, s39
	v_and_b32_e32 v22, 0xff, v22
	v_mul_lo_u32 v24, s27, v21
	v_sub_u32_e32 v10, v10, v24
	v_cmp_le_u32_e64 s[40:41], s27, v10
	v_addc_co_u32_e64 v10, s[40:41], 0, v21, s[40:41]
	v_sub_u32_e32 v21, 0, v10
	v_cndmask_b32_e32 v10, v21, v10, vcc
	v_lshlrev_b32_e32 v21, 16, v22
	v_lshlrev_b32_e32 v10, 24, v10
	v_cmp_lt_i16_sdwa s[40:41], sext(v20), v51 src0_sel:BYTE_0 src1_sel:DWORD
	v_or3_b32 v10, v10, v21, v2
	s_and_b64 vcc, s[94:95], s[40:41]
	v_sub_u16_e32 v2, 0, v20
	v_cndmask_b32_e32 v2, v20, v2, vcc
	v_and_b32_e32 v2, 0xff, v2
	v_mul_hi_u32 v21, v2, s39
	v_lshrrev_b32_e32 v20, 16, v20
	v_mul_lo_u32 v22, s27, v21
	v_sub_u32_e32 v2, v2, v22
	v_cmp_le_u32_e64 s[40:41], s27, v2
	v_addc_co_u32_e64 v2, s[40:41], 0, v21, s[40:41]
	v_sub_u32_e32 v21, 0, v2
	v_and_b32_e32 v22, 0x8000, v19
	v_cndmask_b32_e32 v2, v2, v21, vcc
	v_lshrrev_b32_e32 v21, 8, v11
	v_cmp_ne_u32_e32 vcc, 0, v22
	s_and_b64 vcc, s[94:95], vcc
	v_sub_u16_e32 v22, 0, v21
	v_cndmask_b32_e32 v21, v21, v22, vcc
	v_and_b32_e32 v21, 0xff, v21
	v_mul_hi_u32 v22, v21, s39
	v_lshrrev_b32_e32 v11, 24, v11
	v_and_b32_e32 v19, s38, v19
	v_mul_lo_u32 v23, s27, v22
	v_sub_u32_e32 v21, v21, v23
	v_cmp_le_u32_e64 s[40:41], s27, v21
	v_addc_co_u32_e64 v21, s[40:41], 0, v22, s[40:41]
	v_sub_u32_e32 v22, 0, v21
	v_cmp_lt_i16_sdwa s[40:41], sext(v20), v51 src0_sel:BYTE_0 src1_sel:DWORD
	v_cndmask_b32_e32 v21, v21, v22, vcc
	s_and_b64 vcc, s[94:95], s[40:41]
	v_sub_u16_e32 v22, 0, v20
	v_cndmask_b32_e32 v20, v20, v22, vcc
	v_and_b32_e32 v20, 0xff, v20
	v_mul_hi_u32 v22, v20, s39
	v_lshlrev_b32_e32 v21, 8, v21
	v_perm_b32 v2, v21, v2, s99
	v_mul_lo_u32 v23, s27, v22
	v_sub_u32_e32 v20, v20, v23
	v_cmp_le_u32_e64 s[40:41], s27, v20
	v_addc_co_u32_e64 v20, s[40:41], 0, v22, s[40:41]
	v_sub_u32_e32 v22, 0, v20
	v_cndmask_b32_e32 v20, v20, v22, vcc
	v_cmp_lt_i32_e32 vcc, -1, v19
	v_sub_u16_e32 v19, 0, v11
	v_cndmask_b32_e32 v11, v19, v11, vcc
	v_and_b32_e32 v11, 0xff, v11
	v_mul_hi_u32 v19, v11, s39
	v_and_b32_e32 v20, 0xff, v20
	v_mul_lo_u32 v22, s27, v19
	v_sub_u32_e32 v11, v11, v22
	v_cmp_le_u32_e64 s[40:41], s27, v11
	v_addc_co_u32_e64 v11, s[40:41], 0, v19, s[40:41]
	v_sub_u32_e32 v19, 0, v11
	v_cndmask_b32_sdwa v11, v19, v11, vcc dst_sel:BYTE_3 dst_unused:UNUSED_PAD src0_sel:DWORD src1_sel:DWORD
	v_lshlrev_b32_e32 v19, 16, v20
	v_or3_b32 v11, v11, v19, v2
.LBB6_574:                              ;   Parent Loop BB6_47 Depth=1
                                        ;     Parent Loop BB6_491 Depth=2
                                        ;       Parent Loop BB6_573 Depth=3
                                        ; =>      This Inner Loop Header: Depth=4
	s_cmp_eq_u32 s36, 1
	s_cselect_b64 s[40:41], -1, 0
	v_cndmask_b32_e64 v19, v7, v17, s[40:41]
	v_cndmask_b32_e64 v20, v16, v18, s[40:41]
	v_add_co_u32_e32 v2, vcc, 0x400, v19
	s_cmp_eq_u32 s36, 0
	global_store_dwordx4 v[19:20], v[8:11], off glc slc
	v_addc_co_u32_e32 v19, vcc, 0, v20, vcc
	s_cselect_b64 vcc, -1, 0
	s_and_b64 s[42:43], exec, s[34:35]
	s_mov_b64 s[36:37], 1
	v_cndmask_b32_e64 v17, v17, v2, s[40:41]
	s_mov_b64 s[34:35], 0
	v_cndmask_b32_e64 v18, v18, v19, s[40:41]
	v_cndmask_b32_e32 v16, v16, v19, vcc
	v_cndmask_b32_e32 v7, v7, v2, vcc
	s_mov_b64 vcc, s[42:43]
	s_cbranch_vccnz .LBB6_574
; %bb.575:                              ;   in Loop: Header=BB6_573 Depth=3
	buffer_load_dword v2, off, s[0:3], s33 offset:160 ; 4-byte Folded Reload
	buffer_load_dword v8, off, s[0:3], s33 offset:164 ; 4-byte Folded Reload
	v_sub_u32_e32 v6, v6, v32
	v_sub_u32_e32 v5, v5, v53
	s_waitcnt vmcnt(1)
	v_add_co_u32_e32 v12, vcc, v12, v2
	s_waitcnt vmcnt(0)
	v_addc_co_u32_e32 v13, vcc, v13, v8, vcc
	v_add_co_u32_e32 v14, vcc, v14, v2
	buffer_load_dword v2, off, s[0:3], s33 offset:152 ; 4-byte Folded Reload
	v_addc_co_u32_e32 v15, vcc, v15, v8, vcc
	buffer_load_dword v8, off, s[0:3], s33 offset:156 ; 4-byte Folded Reload
	s_waitcnt vmcnt(1)
	v_add_co_u32_e32 v7, vcc, v7, v2
	s_waitcnt vmcnt(0)
	v_addc_co_u32_e32 v16, vcc, v16, v8, vcc
	v_add_co_u32_e32 v17, vcc, v17, v2
	v_addc_co_u32_e32 v18, vcc, v18, v8, vcc
	v_cmp_gt_i32_e32 vcc, 16, v6
	s_or_b64 s[30:31], vcc, s[30:31]
	s_andn2_b64 exec, exec, s[30:31]
	s_cbranch_execnz .LBB6_573
; %bb.576:                              ;   in Loop: Header=BB6_491 Depth=2
	s_or_b64 exec, exec, s[30:31]
	buffer_load_dword v20, off, s[0:3], s33 offset:252 ; 4-byte Folded Reload
	buffer_load_dword v21, off, s[0:3], s33 offset:256 ; 4-byte Folded Reload
	;; [unrolled: 1-line block ×8, first 2 shown]
	v_mov_b32_e32 v17, v58
	v_mov_b32_e32 v28, v60
	;; [unrolled: 1-line block ×7, first 2 shown]
.LBB6_577:                              ;   in Loop: Header=BB6_491 Depth=2
	s_or_b64 exec, exec, s[92:93]
	v_and_b32_e32 v2, 15, v47
	v_sub_u32_e32 v6, v4, v2
	v_cndmask_b32_e64 v6, 0, v6, s[28:29]
	v_cndmask_b32_e64 v4, v4, v2, s[28:29]
	v_cmp_lt_i32_e32 vcc, 0, v5
	v_add3_u32 v6, v0, v1, v6
	v_cndmask_b32_e32 v0, 0, v53, vcc
	v_cmp_ne_u32_e32 vcc, 0, v4
	v_sub_u32_e32 v0, v0, v5
	s_andn2_b64 s[28:29], s[88:89], exec
	s_and_b64 s[40:41], vcc, exec
	v_lshl_add_u32 v3, v0, 6, v3
	s_or_b64 s[88:89], s[28:29], s[40:41]
.LBB6_578:                              ;   in Loop: Header=BB6_491 Depth=2
	s_or_b64 exec, exec, s[90:91]
	s_and_saveexec_b64 s[42:43], s[88:89]
	s_cbranch_execnz .LBB6_586
	s_branch .LBB6_596
.LBB6_579:                              ;   in Loop: Header=BB6_491 Depth=2
	s_mov_b64 s[28:29], 0
	s_and_saveexec_b64 s[40:41], s[10:11]
	s_cbranch_execnz .LBB6_627
.LBB6_580:                              ;   in Loop: Header=BB6_491 Depth=2
	s_or_b64 exec, exec, s[40:41]
                                        ; implicit-def: $vgpr0
	s_and_saveexec_b64 s[40:41], s[24:25]
	s_xor_b64 s[40:41], exec, s[40:41]
	s_cbranch_execz .LBB6_645
.LBB6_581:                              ;   in Loop: Header=BB6_491 Depth=2
	v_and_b32_e32 v1, 16, v45
	v_cmp_ne_u32_e32 vcc, 0, v1
	v_and_b32_e32 v0, 16, v45
	s_and_b64 s[42:43], vcc, s[28:29]
	s_and_saveexec_b64 s[28:29], s[42:43]
	s_cbranch_execz .LBB6_583
; %bb.582:                              ;   in Loop: Header=BB6_491 Depth=2
	v_mov_b32_e32 v0, 1
	s_waitcnt vmcnt(0) lgkmcnt(0)
	buffer_wbinvl1_vol
.LBB6_583:                              ;   in Loop: Header=BB6_491 Depth=2
	s_or_b64 exec, exec, s[28:29]
	s_andn2_saveexec_b64 s[28:29], s[40:41]
	s_cbranch_execz .LBB6_664
	s_branch .LBB6_646
.LBB6_584:                              ;   in Loop: Header=BB6_491 Depth=2
	s_mov_b64 s[88:89], 0
                                        ; implicit-def: $sgpr38
                                        ; implicit-def: $sgpr27
	s_andn2_b64 vcc, exec, s[40:41]
	v_mov_b32_e32 v6, 0
	s_cbranch_vccz .LBB6_566
.LBB6_585:                              ;   in Loop: Header=BB6_491 Depth=2
	buffer_load_dword v3, off, s[0:3], s33 offset:148 ; 4-byte Folded Reload
	v_mov_b32_e32 v4, v47
	s_and_saveexec_b64 s[42:43], s[88:89]
	s_cbranch_execz .LBB6_596
.LBB6_586:                              ;   in Loop: Header=BB6_491 Depth=2
	s_waitcnt vmcnt(0)
	v_ashrrev_i32_e32 v0, 31, v3
	v_ashrrev_i32_e32 v1, 31, v4
	v_lshrrev_b32_e32 v0, 26, v0
	v_lshrrev_b32_e32 v1, 21, v1
	v_add_u32_e32 v0, v3, v0
	v_add_u32_e32 v1, v4, v1
	v_ashrrev_i32_e32 v2, 6, v0
	v_ashrrev_i32_e32 v1, 11, v1
	v_sub_u32_e32 v5, v1, v2
	v_cmp_lt_i32_e32 vcc, 0, v5
	s_and_saveexec_b64 s[40:41], vcc
	s_cbranch_execz .LBB6_590
; %bb.587:                              ;   in Loop: Header=BB6_491 Depth=2
	buffer_store_dword v1, off, s[0:3], s33 offset:388 ; 4-byte Folded Spill
	buffer_store_dword v4, off, s[0:3], s33 offset:376 ; 4-byte Folded Spill
	;; [unrolled: 1-line block ×5, first 2 shown]
	s_nop 0
	buffer_store_dword v47, off, s[0:3], s33 offset:320 ; 4-byte Folded Spill
	buffer_store_dword v15, off, s[0:3], s33 offset:136 ; 4-byte Folded Spill
	s_nop 0
	buffer_store_dword v16, off, s[0:3], s33 offset:140 ; 4-byte Folded Spill
	buffer_store_dword v37, off, s[0:3], s33 offset:220 ; 4-byte Folded Spill
	;; [unrolled: 3-line block ×3, first 2 shown]
	s_nop 0
	buffer_store_dword v57, off, s[0:3], s33 offset:216 ; 4-byte Folded Spill
	v_cvt_f32_u32_e32 v1, s27
	v_and_b32_e32 v0, 0xffffffc0, v0
	buffer_store_dword v2, off, s[0:3], s33 offset:384 ; 4-byte Folded Spill
	v_lshlrev_b32_e32 v2, 11, v2
	v_rcp_iflag_f32_e32 v1, v1
	v_sub_u32_e32 v0, v3, v0
	v_add3_u32 v2, v6, v0, v2
	s_trap 2
	v_mul_f32_e32 v1, 0x4f7ffffe, v1
	v_cvt_u32_f32_e32 v1, v1
	buffer_store_dword v3, off, s[0:3], s33 offset:380 ; 4-byte Folded Spill
	buffer_store_dword v6, off, s[0:3], s33 offset:372 ; 4-byte Folded Spill
	v_add_co_u32_e32 v8, vcc, v2, v28
	v_readfirstlane_b32 s29, v1
	ds_read_b64 v[0:1], v0
	buffer_store_dword v28, off, s[0:3], s33 offset:332 ; 4-byte Folded Spill
	s_nop 0
	buffer_store_dword v29, off, s[0:3], s33 offset:336 ; 4-byte Folded Spill
	v_ashrrev_i32_e32 v3, 31, v2
	s_sub_i32 s28, 0, s27
	s_mul_i32 s28, s28, s29
	s_mul_hi_u32 s28, s29, s28
	s_add_i32 s29, s29, s28
	s_mul_hi_u32 s28, s29, -1
	s_mul_i32 s29, s28, s27
	s_not_b32 s29, s29
	s_add_i32 s88, s28, 1
	s_sub_i32 s89, s29, s27
	s_cmp_ge_u32 s29, s27
	s_cselect_b32 s28, s88, s28
	s_cselect_b32 s29, s89, s29
	s_add_i32 s88, s28, 1
	s_cmp_ge_u32 s29, s27
	s_cselect_b32 s92, s88, s28
	s_cmp_lt_i32 s38, 0
	s_cselect_b64 s[88:89], -1, 0
	s_mov_b64 s[90:91], 0
	v_mov_b32_e32 v44, v51
	v_addc_co_u32_e32 v9, vcc, v3, v29, vcc
	s_waitcnt lgkmcnt(0)
	v_add_co_u32_e32 v10, vcc, v0, v2
	v_addc_co_u32_e32 v11, vcc, v1, v3, vcc
	v_add_co_u32_e32 v12, vcc, v2, v17
	buffer_store_dword v17, off, s[0:3], s33 offset:296 ; 4-byte Folded Spill
	s_nop 0
	buffer_store_dword v18, off, s[0:3], s33 offset:300 ; 4-byte Folded Spill
	v_addc_co_u32_e32 v13, vcc, v3, v18, vcc
	v_add_co_u32_e32 v14, vcc, v2, v30
	buffer_store_dword v30, off, s[0:3], s33 offset:364 ; 4-byte Folded Spill
	s_nop 0
	buffer_store_dword v31, off, s[0:3], s33 offset:368 ; 4-byte Folded Spill
	v_addc_co_u32_e32 v15, vcc, v3, v31, vcc
.LBB6_588:                              ;   Parent Loop BB6_47 Depth=1
                                        ;     Parent Loop BB6_491 Depth=2
                                        ; =>    This Inner Loop Header: Depth=3
	buffer_store_dword v5, off, s[0:3], s33 offset:60 ; 4-byte Folded Spill
	flat_load_ubyte v40, v[8:9] glc slc
	flat_load_ubyte v55, v[8:9] offset:64 glc slc
	flat_load_ubyte v54, v[8:9] offset:128 glc slc
	;; [unrolled: 1-line block ×20, first 2 shown]
	s_waitcnt vmcnt(0) lgkmcnt(0)
	buffer_store_dword v0, off, s[0:3], s33 offset:276 ; 4-byte Folded Spill
	flat_load_ubyte v0, v[8:9] offset:1344 glc slc
	s_waitcnt vmcnt(0) lgkmcnt(0)
	buffer_store_dword v0, off, s[0:3], s33 offset:244 ; 4-byte Folded Spill
	flat_load_ubyte v0, v[8:9] offset:1408 glc slc
	s_waitcnt vmcnt(0) lgkmcnt(0)
	buffer_store_dword v0, off, s[0:3], s33 offset:240 ; 4-byte Folded Spill
	flat_load_ubyte v0, v[8:9] offset:1472 glc slc
	s_waitcnt vmcnt(0) lgkmcnt(0)
	buffer_store_dword v0, off, s[0:3], s33 offset:232 ; 4-byte Folded Spill
	flat_load_ubyte v0, v[8:9] offset:1536 glc slc
	s_waitcnt vmcnt(0) lgkmcnt(0)
	buffer_store_dword v0, off, s[0:3], s33 offset:68 ; 4-byte Folded Spill
	flat_load_ubyte v0, v[8:9] offset:1600 glc slc
	s_waitcnt vmcnt(0) lgkmcnt(0)
	buffer_store_dword v0, off, s[0:3], s33 offset:76 ; 4-byte Folded Spill
	flat_load_ubyte v0, v[8:9] offset:1664 glc slc
	s_waitcnt vmcnt(0) lgkmcnt(0)
	buffer_store_dword v0, off, s[0:3], s33 offset:84 ; 4-byte Folded Spill
	flat_load_ubyte v0, v[8:9] offset:1728 glc slc
	s_waitcnt vmcnt(0) lgkmcnt(0)
	buffer_store_dword v0, off, s[0:3], s33 offset:88 ; 4-byte Folded Spill
	flat_load_ubyte v0, v[8:9] offset:1792 glc slc
	s_waitcnt vmcnt(0) lgkmcnt(0)
	buffer_store_dword v0, off, s[0:3], s33 offset:92 ; 4-byte Folded Spill
	flat_load_ubyte v0, v[8:9] offset:1856 glc slc
	s_waitcnt vmcnt(0) lgkmcnt(0)
	buffer_store_dword v0, off, s[0:3], s33 offset:96 ; 4-byte Folded Spill
	flat_load_ubyte v0, v[8:9] offset:1920 glc slc
	s_waitcnt vmcnt(0) lgkmcnt(0)
	buffer_store_dword v0, off, s[0:3], s33 offset:100 ; 4-byte Folded Spill
	flat_load_ubyte v0, v[8:9] offset:1984 glc slc
	s_waitcnt vmcnt(0) lgkmcnt(0)
	buffer_store_dword v0, off, s[0:3], s33 offset:104 ; 4-byte Folded Spill
	flat_load_ubyte v2, v[10:11] glc slc
	flat_load_ubyte v53, v[10:11] offset:64 glc slc
	flat_load_ubyte v52, v[10:11] offset:128 glc slc
	;; [unrolled: 1-line block ×31, first 2 shown]
	s_waitcnt vmcnt(0) lgkmcnt(0)
	v_add_u16_e32 v40, v2, v40
	v_add_u16_e32 v55, v53, v55
	;; [unrolled: 1-line block ×12, first 2 shown]
	buffer_load_dword v1, off, s[0:3], s33 offset:276 ; 4-byte Folded Reload
	v_add_u16_e32 v0, v7, v32
	v_add_u16_e32 v32, v16, v34
	;; [unrolled: 1-line block ×7, first 2 shown]
	v_cmp_lt_i16_sdwa s[28:29], sext(v40), v44 src0_sel:BYTE_0 src1_sel:DWORD
	s_and_b64 vcc, s[88:89], s[28:29]
	v_add_u16_e32 v38, v18, v38
	s_waitcnt vmcnt(0)
	v_add_u16_e32 v54, v23, v1
	buffer_load_dword v1, off, s[0:3], s33 offset:244 ; 4-byte Folded Reload
	s_waitcnt vmcnt(0)
	v_add_u16_e32 v17, v25, v1
	buffer_load_dword v1, off, s[0:3], s33 offset:240 ; 4-byte Folded Reload
	;; [unrolled: 3-line block ×11, first 2 shown]
	s_waitcnt vmcnt(0)
	v_add_u16_e32 v26, v60, v1
	v_sub_u16_e32 v1, 0, v40
	v_cndmask_b32_e32 v1, v40, v1, vcc
	v_and_b32_e32 v1, 0xff, v1
	v_mul_hi_u32 v3, v1, s92
	v_mul_lo_u32 v4, s27, v3
	v_sub_u32_e32 v1, v1, v4
	v_cmp_le_u32_e64 s[28:29], s27, v1
	v_addc_co_u32_e64 v1, s[28:29], 0, v3, s[28:29]
	v_sub_u32_e32 v3, 0, v1
	v_cmp_lt_i16_sdwa s[28:29], sext(v55), v44 src0_sel:BYTE_0 src1_sel:DWORD
	v_cndmask_b32_e32 v6, v1, v3, vcc
	s_and_b64 vcc, s[88:89], s[28:29]
	v_sub_u16_e32 v1, 0, v55
	v_cndmask_b32_e32 v1, v55, v1, vcc
	v_and_b32_e32 v1, 0xff, v1
	v_mul_hi_u32 v3, v1, s92
	v_mul_lo_u32 v4, s27, v3
	v_sub_u32_e32 v1, v1, v4
	v_cmp_le_u32_e64 s[28:29], s27, v1
	v_addc_co_u32_e64 v1, s[28:29], 0, v3, s[28:29]
	v_sub_u32_e32 v3, 0, v1
	v_cmp_lt_i16_sdwa s[28:29], sext(v53), v44 src0_sel:BYTE_0 src1_sel:DWORD
	v_cndmask_b32_e32 v7, v1, v3, vcc
	s_and_b64 vcc, s[88:89], s[28:29]
	v_sub_u16_e32 v1, 0, v53
	v_cndmask_b32_e32 v1, v53, v1, vcc
	v_and_b32_e32 v1, 0xff, v1
	v_mul_hi_u32 v3, v1, s92
	buffer_load_dword v53, off, s[0:3], s33 offset:56 ; 4-byte Folded Reload
	v_mul_lo_u32 v4, s27, v3
	v_sub_u32_e32 v1, v1, v4
	v_cmp_le_u32_e64 s[28:29], s27, v1
	v_addc_co_u32_e64 v1, s[28:29], 0, v3, s[28:29]
	v_sub_u32_e32 v3, 0, v1
	v_cmp_lt_i16_sdwa s[28:29], sext(v52), v44 src0_sel:BYTE_0 src1_sel:DWORD
	v_cndmask_b32_e32 v3, v1, v3, vcc
	s_and_b64 vcc, s[88:89], s[28:29]
	v_sub_u16_e32 v1, 0, v52
	v_cndmask_b32_e32 v1, v52, v1, vcc
	v_and_b32_e32 v1, 0xff, v1
	v_mul_hi_u32 v4, v1, s92
	v_mul_lo_u32 v18, s27, v4
	v_sub_u32_e32 v1, v1, v18
	v_cmp_le_u32_e64 s[28:29], s27, v1
	v_addc_co_u32_e64 v1, s[28:29], 0, v4, s[28:29]
	v_sub_u32_e32 v4, 0, v1
	v_cmp_lt_i16_sdwa s[28:29], sext(v2), v44 src0_sel:BYTE_0 src1_sel:DWORD
	v_cndmask_b32_e32 v4, v1, v4, vcc
	s_and_b64 vcc, s[88:89], s[28:29]
	v_sub_u16_e32 v1, 0, v2
	v_cndmask_b32_e32 v1, v2, v1, vcc
	v_and_b32_e32 v1, 0xff, v1
	v_mul_hi_u32 v2, v1, s92
	;; [unrolled: 12-line block ×29, first 2 shown]
	v_mul_lo_u32 v16, s27, v5
	v_sub_u32_e32 v0, v0, v16
	v_cmp_le_u32_e64 s[28:29], s27, v0
	v_addc_co_u32_e64 v0, s[28:29], 0, v5, s[28:29]
	v_sub_u32_e32 v5, 0, v0
	v_cndmask_b32_e32 v0, v0, v5, vcc
	buffer_load_dword v5, off, s[0:3], s33 offset:60 ; 4-byte Folded Reload
	s_nop 0
	flat_store_byte v[12:13], v6 glc slc
	flat_store_byte v[12:13], v7 offset:64 glc slc
	flat_store_byte v[12:13], v3 offset:128 glc slc
	;; [unrolled: 1-line block ×31, first 2 shown]
	flat_store_byte v[14:15], v6 glc slc
	flat_store_byte v[14:15], v7 offset:64 glc slc
	flat_store_byte v[14:15], v3 offset:128 glc slc
	;; [unrolled: 1-line block ×28, first 2 shown]
	buffer_load_dword v33, off, s[0:3], s33 offset:112 ; 4-byte Folded Reload
	s_nop 0
	flat_store_byte v[14:15], v31 offset:1856 glc slc
	flat_store_byte v[14:15], v29 offset:1920 glc slc
	;; [unrolled: 1-line block ×3, first 2 shown]
	s_waitcnt vmcnt(0)
	v_sub_u32_e32 v5, v5, v53
	v_add_co_u32_e32 v8, vcc, v8, v33
	v_addc_co_u32_e32 v9, vcc, 0, v9, vcc
	v_add_co_u32_e32 v10, vcc, v10, v33
	v_addc_co_u32_e32 v11, vcc, 0, v11, vcc
	v_add_co_u32_e32 v12, vcc, v12, v33
	v_addc_co_u32_e32 v13, vcc, 0, v13, vcc
	v_add_co_u32_e32 v14, vcc, v14, v33
	v_addc_co_u32_e32 v15, vcc, 0, v15, vcc
	v_cmp_gt_i32_e32 vcc, 1, v5
	s_or_b64 s[90:91], vcc, s[90:91]
	s_andn2_b64 exec, exec, s[90:91]
	s_cbranch_execnz .LBB6_588
; %bb.589:                              ;   in Loop: Header=BB6_491 Depth=2
	s_or_b64 exec, exec, s[90:91]
	buffer_load_dword v42, off, s[0:3], s33 offset:288 ; 4-byte Folded Reload
	buffer_load_dword v43, off, s[0:3], s33 offset:292 ; 4-byte Folded Reload
	;; [unrolled: 1-line block ×41, first 2 shown]
	v_mov_b32_e32 v51, v44
	v_mov_b32_e32 v54, 1
	;; [unrolled: 1-line block ×4, first 2 shown]
.LBB6_590:                              ;   in Loop: Header=BB6_491 Depth=2
	s_or_b64 exec, exec, s[40:41]
	s_waitcnt vmcnt(0)
	v_lshlrev_b32_e32 v0, 11, v1
	v_cmp_ne_u32_e32 vcc, v4, v0
	s_and_b64 exec, exec, vcc
	s_cbranch_execz .LBB6_596
; %bb.591:                              ;   in Loop: Header=BB6_491 Depth=2
	v_lshlrev_b32_e32 v1, 6, v2
	v_sub_u32_e32 v1, v3, v1
	v_lshlrev_b32_e32 v2, 6, v5
	v_sub_u32_e32 v1, v1, v2
	v_add_u32_e32 v0, v0, v1
	v_sub_u32_e32 v1, v4, v0
	v_cmp_lt_i32_e32 vcc, 0, v1
	s_and_b64 exec, exec, vcc
	s_cbranch_execz .LBB6_596
; %bb.592:                              ;   in Loop: Header=BB6_491 Depth=2
	v_cvt_f32_u32_e32 v2, s27
	s_sub_i32 s28, 0, s27
	v_add_u32_e32 v0, v0, v6
	s_trap 2
	v_rcp_iflag_f32_e32 v2, v2
	ds_read_b128 v[4:7], v0
	v_ashrrev_i32_e32 v3, 31, v0
	s_mov_b64 s[90:91], 0
	v_mul_f32_e32 v2, 0x4f7ffffe, v2
	v_cvt_u32_f32_e32 v2, v2
	s_waitcnt lgkmcnt(0)
	v_add_co_u32_e32 v4, vcc, v4, v0
	v_addc_co_u32_e32 v5, vcc, v5, v3, vcc
	v_readfirstlane_b32 s29, v2
	s_mul_i32 s28, s28, s29
	s_mul_hi_u32 s28, s29, s28
	s_add_i32 s29, s29, s28
	s_mul_hi_u32 s28, s29, -1
	s_mul_i32 s29, s28, s27
	s_not_b32 s29, s29
	s_add_i32 s40, s28, 1
	s_sub_i32 s41, s29, s27
	s_cmp_ge_u32 s29, s27
	s_cselect_b32 s28, s40, s28
	s_cselect_b32 s29, s41, s29
	s_add_i32 s40, s28, 1
	v_add_co_u32_e32 v8, vcc, v6, v0
	s_cmp_ge_u32 s29, s27
	v_addc_co_u32_e32 v9, vcc, v7, v3, vcc
	s_cselect_b32 s30, s40, s28
	s_cmp_lt_i32 s38, 0
	v_mov_b32_e32 v11, v5
	v_mov_b32_e32 v13, v9
	s_cselect_b64 s[88:89], -1, 0
	v_mov_b32_e32 v10, v4
	v_mov_b32_e32 v12, v8
.LBB6_593:                              ;   Parent Loop BB6_47 Depth=1
                                        ;     Parent Loop BB6_491 Depth=2
                                        ; =>    This Loop Header: Depth=3
                                        ;         Child Loop BB6_594 Depth 4
	flat_load_ubyte v0, v[10:11] glc slc
	flat_load_ubyte v2, v[12:13] glc slc
	s_mov_b64 s[92:93], -1
	s_mov_b64 s[94:95], 0
	s_waitcnt vmcnt(0) lgkmcnt(0)
	v_add_u16_e32 v0, v2, v0
	v_cmp_lt_i16_sdwa s[28:29], sext(v0), v51 src0_sel:BYTE_0 src1_sel:DWORD
	s_and_b64 vcc, s[88:89], s[28:29]
	v_sub_u16_e32 v2, 0, v0
	v_cndmask_b32_e32 v0, v0, v2, vcc
	v_and_b32_e32 v0, 0xff, v0
	v_mul_hi_u32 v2, v0, s30
	v_mul_lo_u32 v3, s27, v2
	v_sub_u32_e32 v0, v0, v3
	v_cmp_le_u32_e64 s[28:29], s27, v0
	v_addc_co_u32_e64 v0, s[28:29], 0, v2, s[28:29]
	v_sub_u32_e32 v2, 0, v0
	v_cndmask_b32_e32 v0, v0, v2, vcc
.LBB6_594:                              ;   Parent Loop BB6_47 Depth=1
                                        ;     Parent Loop BB6_491 Depth=2
                                        ;       Parent Loop BB6_593 Depth=3
                                        ; =>      This Inner Loop Header: Depth=4
	s_cmp_eq_u32 s94, 1
	s_cselect_b64 vcc, -1, 0
	v_cndmask_b32_e32 v3, v5, v9, vcc
	v_cndmask_b32_e32 v2, v4, v8, vcc
	flat_store_byte v[2:3], v0 glc slc
	v_add_co_u32_e64 v2, s[28:29], 64, v2
	s_cmp_eq_u32 s94, 0
	v_addc_co_u32_e64 v3, s[28:29], 0, v3, s[28:29]
	s_cselect_b64 s[28:29], -1, 0
	s_and_b64 s[40:41], exec, s[92:93]
	s_mov_b64 s[94:95], 1
	s_mov_b64 s[92:93], 0
	v_cndmask_b32_e32 v9, v9, v3, vcc
	v_cndmask_b32_e32 v8, v8, v2, vcc
	v_cndmask_b32_e64 v5, v5, v3, s[28:29]
	v_cndmask_b32_e64 v4, v4, v2, s[28:29]
	s_mov_b64 vcc, s[40:41]
	s_cbranch_vccnz .LBB6_594
; %bb.595:                              ;   in Loop: Header=BB6_593 Depth=3
	v_add_co_u32_e32 v10, vcc, v10, v27
	v_addc_co_u32_e32 v11, vcc, v11, v25, vcc
	v_add_co_u32_e32 v12, vcc, v12, v27
	v_addc_co_u32_e32 v13, vcc, v13, v25, vcc
	;; [unrolled: 2-line block ×3, first 2 shown]
	v_sub_u32_e32 v1, v1, v50
	v_cmp_gt_i32_e32 vcc, 1, v1
	s_or_b64 s[90:91], vcc, s[90:91]
	v_add_co_u32_e32 v8, vcc, v8, v34
	v_addc_co_u32_e32 v9, vcc, v9, v35, vcc
	s_andn2_b64 exec, exec, s[90:91]
	s_cbranch_execnz .LBB6_593
.LBB6_596:                              ;   in Loop: Header=BB6_491 Depth=2
	s_or_b64 exec, exec, s[42:43]
	s_mov_b64 s[28:29], 0
.LBB6_597:                              ;   in Loop: Header=BB6_491 Depth=2
	s_and_b64 vcc, exec, s[28:29]
	s_cbranch_vccz .LBB6_615
; %bb.598:                              ;   in Loop: Header=BB6_491 Depth=2
	s_mov_b64 s[28:29], -1
	s_and_saveexec_b64 s[40:41], s[22:23]
	s_cbranch_execz .LBB6_600
; %bb.599:                              ;   in Loop: Header=BB6_491 Depth=2
	ds_read_b32 v0, v0 offset:720
	s_waitcnt lgkmcnt(0)
	v_and_b32_e32 v0, 15, v0
	v_cmp_eq_u32_e32 vcc, 0, v0
	s_orn2_b64 s[28:29], vcc, exec
.LBB6_600:                              ;   in Loop: Header=BB6_491 Depth=2
	s_or_b64 exec, exec, s[40:41]
	s_and_saveexec_b64 s[40:41], s[18:19]
	s_cbranch_execz .LBB6_602
; %bb.601:                              ;   in Loop: Header=BB6_491 Depth=2
	ds_read_b32 v0, v0 offset:784
	s_waitcnt lgkmcnt(0)
	v_and_b32_e32 v0, 15, v0
	v_cmp_eq_u32_e32 vcc, 0, v0
	s_and_b64 s[42:43], s[28:29], vcc
	s_andn2_b64 s[28:29], s[28:29], exec
	s_and_b64 s[42:43], s[42:43], exec
	s_or_b64 s[28:29], s[28:29], s[42:43]
.LBB6_602:                              ;   in Loop: Header=BB6_491 Depth=2
	s_or_b64 exec, exec, s[40:41]
	s_xor_b64 s[28:29], s[28:29], -1
	v_cndmask_b32_e64 v0, 0, 1, s[28:29]
	s_mov_b64 s[40:41], -1
	v_cmp_ne_u32_e32 vcc, 0, v0
	v_alignbit_b32 v0, v30, v30, 1
	s_cbranch_vccz .LBB6_616
; %bb.603:                              ;   in Loop: Header=BB6_491 Depth=2
	v_readfirstlane_b32 s27, v0
	v_readfirstlane_b32 s30, v0
	s_bitset0_b32 s27, 31
	s_mov_b64 s[42:43], -1
	s_waitcnt vmcnt(0)
	v_mov_b32_e32 v3, 0
	s_cbranch_execnz .LBB6_617
.LBB6_604:                              ;   in Loop: Header=BB6_491 Depth=2
	v_readfirstlane_b32 s30, v0
	v_readfirstlane_b32 s27, v0
	buffer_load_dword v0, off, s[0:3], s33 offset:228 ; 4-byte Folded Reload
	v_ashrrev_i32_e32 v1, 31, v47
	v_lshrrev_b32_e32 v1, 20, v1
	v_add_u32_e32 v1, v47, v1
	v_ashrrev_i32_e32 v1, 12, v1
	s_bitset0_b32 s27, 31
	s_waitcnt vmcnt(0)
	v_sub_u32_e32 v44, v1, v0
	v_cmp_lt_i32_e32 vcc, 0, v44
	s_and_saveexec_b64 s[40:41], vcc
	s_cbranch_execz .LBB6_608
; %bb.605:                              ;   in Loop: Header=BB6_491 Depth=2
	buffer_store_dword v1, off, s[0:3], s33 offset:100 ; 4-byte Folded Spill
	buffer_store_dword v47, off, s[0:3], s33 offset:328 ; 4-byte Folded Spill
	;; [unrolled: 1-line block ×4, first 2 shown]
	s_nop 0
	buffer_store_dword v47, off, s[0:3], s33 offset:320 ; 4-byte Folded Spill
	buffer_store_dword v15, off, s[0:3], s33 offset:136 ; 4-byte Folded Spill
	s_nop 0
	buffer_store_dword v16, off, s[0:3], s33 offset:140 ; 4-byte Folded Spill
	buffer_store_dword v37, off, s[0:3], s33 offset:220 ; 4-byte Folded Spill
	;; [unrolled: 3-line block ×3, first 2 shown]
	s_nop 0
	buffer_store_dword v57, off, s[0:3], s33 offset:216 ; 4-byte Folded Spill
	buffer_load_dword v3, off, s[0:3], s33 offset:284 ; 4-byte Folded Reload
	v_cvt_f32_u32_e32 v0, s27
	s_sub_i32 s28, 0, s27
	s_mov_b64 s[90:91], 0
	v_rcp_iflag_f32_e32 v0, v0
	v_mul_f32_e32 v0, 0x4f7ffffe, v0
	v_cvt_u32_f32_e32 v2, v0
	v_readfirstlane_b32 s29, v2
	s_mul_i32 s28, s28, s29
	s_mul_hi_u32 s28, s29, s28
	s_add_i32 s29, s29, s28
	s_mul_hi_u32 s28, s29, -1
	s_mul_i32 s29, s28, s27
	s_not_b32 s29, s29
	s_add_i32 s88, s28, 1
	s_sub_i32 s89, s29, s27
	s_cmp_ge_u32 s29, s27
	s_cselect_b32 s28, s88, s28
	s_cselect_b32 s29, s89, s29
	s_add_i32 s88, s28, 1
	s_cmp_ge_u32 s29, s27
	s_cselect_b32 s92, s88, s28
	s_cmp_lt_i32 s30, 0
	s_cselect_b64 s[88:89], -1, 0
	s_waitcnt vmcnt(0)
	v_add_co_u32_e32 v60, vcc, v28, v3
	buffer_store_dword v28, off, s[0:3], s33 offset:332 ; 4-byte Folded Spill
	s_nop 0
	buffer_store_dword v29, off, s[0:3], s33 offset:336 ; 4-byte Folded Spill
	s_trap 2
	ds_read_b64 v[0:1], v0
	v_addc_co_u32_e32 v61, vcc, 0, v29, vcc
	s_waitcnt lgkmcnt(0)
	v_add_co_u32_e32 v28, vcc, v0, v3
	v_addc_co_u32_e32 v29, vcc, 0, v1, vcc
	v_add_co_u32_e32 v30, vcc, v17, v3
	buffer_store_dword v17, off, s[0:3], s33 offset:296 ; 4-byte Folded Spill
	s_nop 0
	buffer_store_dword v18, off, s[0:3], s33 offset:300 ; 4-byte Folded Spill
	v_addc_co_u32_e32 v31, vcc, 0, v18, vcc
.LBB6_606:                              ;   Parent Loop BB6_47 Depth=1
                                        ;     Parent Loop BB6_491 Depth=2
                                        ; =>    This Inner Loop Header: Depth=3
	buffer_store_dword v44, off, s[0:3], s33 offset:68 ; 4-byte Folded Spill
	global_load_dwordx4 v[2:5], v[60:61], off glc slc
	global_load_dwordx4 v[24:27], v[60:61], off offset:1024 glc slc
	global_load_dwordx4 v[20:23], v[60:61], off offset:2048 glc slc
	;; [unrolled: 1-line block ×3, first 2 shown]
	v_mov_b32_e32 v6, v51
	global_load_dwordx4 v[51:54], v[28:29], off glc slc
	global_load_dwordx4 v[32:35], v[28:29], off offset:1024 glc slc
	global_load_dwordx4 v[16:19], v[28:29], off offset:2048 glc slc
	;; [unrolled: 1-line block ×3, first 2 shown]
	s_waitcnt vmcnt(7)
	v_and_b32_e32 v0, 0xff00ff, v2
	s_waitcnt vmcnt(3)
	v_and_b32_e32 v1, 0xff00ff, v51
	v_add_u32_e32 v50, v1, v0
	v_and_b32_e32 v0, 0xff00ff00, v2
	v_and_b32_e32 v1, 0xff00ff00, v51
	v_add_u32_e32 v48, v1, v0
	v_and_b32_e32 v0, 0xff00ff, v3
	;; [unrolled: 3-line block ×5, first 2 shown]
	v_and_b32_e32 v2, 0xff00ff, v5
	v_and_b32_e32 v4, 0xff00ff, v54
	v_add_u32_e32 v7, v4, v2
	v_and_b32_e32 v2, 0xff00ff00, v5
	v_and_b32_e32 v4, 0xff00ff00, v54
	v_add_u32_e32 v40, v4, v2
	v_and_b32_e32 v2, 0xff00ff, v24
	s_waitcnt vmcnt(2)
	v_and_b32_e32 v4, 0xff00ff, v32
	v_add_u32_e32 v5, v4, v2
	v_and_b32_e32 v2, 0xff00ff00, v24
	v_and_b32_e32 v4, 0xff00ff00, v32
	v_add_u32_e32 v59, v4, v2
	v_and_b32_e32 v2, 0xff00ff, v25
	;; [unrolled: 3-line block ×3, first 2 shown]
	v_and_b32_e32 v4, 0xff00ff00, v33
	v_mov_b32_e32 v51, v6
	v_add_u32_e32 v6, v4, v2
	v_and_b32_e32 v2, 0xff00ff, v26
	v_and_b32_e32 v4, 0xff00ff, v34
	v_add_u32_e32 v47, v4, v2
	v_and_b32_e32 v2, 0xff00ff00, v26
	v_and_b32_e32 v4, 0xff00ff00, v34
	;; [unrolled: 3-line block ×4, first 2 shown]
	v_add_u32_e32 v54, v4, v2
	v_and_b32_e32 v2, 0xff00ff, v20
	s_waitcnt vmcnt(1)
	v_and_b32_e32 v4, 0xff00ff, v16
	v_add_u32_e32 v4, v4, v2
	v_and_b32_e32 v2, 0xff00ff00, v20
	v_and_b32_e32 v16, 0xff00ff00, v16
	v_add_u32_e32 v16, v16, v2
	v_and_b32_e32 v2, 0xff00ff, v21
	v_and_b32_e32 v20, 0xff00ff, v17
	v_add_u32_e32 v39, v20, v2
	v_and_b32_e32 v2, 0xff00ff00, v21
	v_and_b32_e32 v17, 0xff00ff00, v17
	v_add_u32_e32 v17, v17, v2
	v_and_b32_e32 v2, 0xff00ff, v22
	v_and_b32_e32 v20, 0xff00ff, v18
	v_add_u32_e32 v20, v20, v2
	v_and_b32_e32 v2, 0xff00ff00, v22
	v_and_b32_e32 v18, 0xff00ff00, v18
	v_add_u32_e32 v18, v18, v2
	v_perm_b32 v2, v18, v20, s64
	buffer_store_dword v2, off, s[0:3], s33 offset:96 ; 4-byte Folded Spill
	v_and_b32_e32 v2, 0xff00ff, v23
	v_and_b32_e32 v21, 0xff00ff, v19
	v_add_u32_e32 v35, v21, v2
	v_and_b32_e32 v2, 0xff00ff00, v23
	v_and_b32_e32 v19, 0xff00ff00, v19
	v_add_u32_e32 v19, v19, v2
	v_perm_b32 v2, v19, v35, s64
	buffer_store_dword v2, off, s[0:3], s33 offset:92 ; 4-byte Folded Spill
	v_and_b32_e32 v2, 0xff00ff, v12
	s_waitcnt vmcnt(2)
	v_and_b32_e32 v21, 0xff00ff, v8
	v_add_u32_e32 v34, v21, v2
	v_and_b32_e32 v2, 0xff00ff00, v12
	v_and_b32_e32 v8, 0xff00ff00, v8
	v_add_u32_e32 v33, v8, v2
	v_perm_b32 v2, v33, v34, s64
	buffer_store_dword v2, off, s[0:3], s33 offset:88 ; 4-byte Folded Spill
	v_and_b32_e32 v2, 0xff00ff, v13
	v_and_b32_e32 v8, 0xff00ff, v9
	v_add_u32_e32 v32, v8, v2
	v_and_b32_e32 v2, 0xff00ff00, v13
	v_and_b32_e32 v8, 0xff00ff00, v9
	v_add_u32_e32 v21, v8, v2
	v_perm_b32 v2, v21, v32, s64
	buffer_store_dword v2, off, s[0:3], s33 offset:84 ; 4-byte Folded Spill
	v_and_b32_e32 v2, 0xff00ff, v14
	;; [unrolled: 8-line block ×3, first 2 shown]
	v_and_b32_e32 v8, 0xff00ff, v11
	v_add_u32_e32 v23, v8, v2
	v_and_b32_e32 v2, 0xff00ff00, v15
	v_and_b32_e32 v8, 0xff00ff00, v11
	v_add_u32_e32 v52, v8, v2
	v_perm_b32 v2, v52, v23, s64
	v_cmp_lt_i16_sdwa s[28:29], sext(v50), v51 src0_sel:BYTE_0 src1_sel:DWORD
	buffer_store_dword v2, off, s[0:3], s33 offset:60 ; 4-byte Folded Spill
	s_and_b64 vcc, s[88:89], s[28:29]
	v_sub_u16_e32 v2, 0, v50
	v_cndmask_b32_e32 v2, v50, v2, vcc
	v_and_b32_e32 v2, 0xff, v2
	v_mul_hi_u32 v8, v2, s92
	v_perm_b32 v49, v48, v50, s64
	v_perm_b32 v37, v36, v38, s64
	v_and_b32_e32 v1, 0xff00ff00, v53
	v_mul_lo_u32 v9, s27, v8
	v_add_u32_e32 v0, v1, v0
	v_perm_b32 v1, v0, v3, s64
	v_perm_b32 v41, v40, v7, s64
	v_sub_u32_e32 v2, v2, v9
	v_cmp_le_u32_e64 s[28:29], s27, v2
	v_addc_co_u32_e64 v2, s[28:29], 0, v8, s[28:29]
	v_sub_u32_e32 v8, 0, v2
	v_and_b32_e32 v9, 0x8000, v49
	v_cndmask_b32_e32 v2, v2, v8, vcc
	v_lshrrev_b32_e32 v8, 8, v48
	v_cmp_ne_u32_e32 vcc, 0, v9
	s_and_b64 vcc, s[88:89], vcc
	v_sub_u16_e32 v9, 0, v8
	v_cndmask_b32_e32 v8, v8, v9, vcc
	v_and_b32_e32 v8, 0xff, v8
	v_mul_hi_u32 v9, v8, s92
	v_perm_b32 v24, v59, v5, s64
	v_perm_b32 v56, v6, v57, s64
	;; [unrolled: 1-line block ×3, first 2 shown]
	v_mul_lo_u32 v10, s27, v9
	v_perm_b32 v27, v54, v55, s64
	v_perm_b32 v44, v16, v4, s64
	;; [unrolled: 1-line block ×3, first 2 shown]
	v_sub_u32_e32 v8, v8, v10
	v_cmp_le_u32_e64 s[28:29], s27, v8
	v_addc_co_u32_e64 v8, s[28:29], 0, v9, s[28:29]
	v_sub_u32_e32 v9, 0, v8
	v_cndmask_b32_e32 v8, v8, v9, vcc
	v_lshrrev_b32_e32 v9, 16, v50
	v_cmp_lt_i16_sdwa s[28:29], sext(v9), v51 src0_sel:BYTE_0 src1_sel:DWORD
	s_and_b64 vcc, s[88:89], s[28:29]
	v_sub_u16_e32 v10, 0, v9
	v_cndmask_b32_e32 v9, v9, v10, vcc
	v_and_b32_e32 v9, 0xff, v9
	v_mul_hi_u32 v10, v9, s92
	v_lshlrev_b32_e32 v8, 8, v8
	v_perm_b32 v2, v8, v2, s99
	buffer_load_dword v53, off, s[0:3], s33 offset:56 ; 4-byte Folded Reload
	v_mul_lo_u32 v11, s27, v10
	v_sub_u32_e32 v9, v9, v11
	v_cmp_le_u32_e64 s[28:29], s27, v9
	v_addc_co_u32_e64 v9, s[28:29], 0, v10, s[28:29]
	v_sub_u32_e32 v10, 0, v9
	v_cndmask_b32_e32 v9, v9, v10, vcc
	v_lshrrev_b32_e32 v10, 24, v48
	v_and_b32_e32 v11, s30, v49
	v_cmp_lt_i32_e32 vcc, -1, v11
	v_sub_u16_e32 v11, 0, v10
	v_cndmask_b32_e32 v10, v11, v10, vcc
	v_and_b32_e32 v10, 0xff, v10
	v_mul_hi_u32 v11, v10, s92
	v_and_b32_e32 v9, 0xff, v9
	v_lshlrev_b32_e32 v9, 16, v9
	v_mul_lo_u32 v12, s27, v11
	v_sub_u32_e32 v10, v10, v12
	v_cmp_le_u32_e64 s[28:29], s27, v10
	v_addc_co_u32_e64 v10, s[28:29], 0, v11, s[28:29]
	v_sub_u32_e32 v11, 0, v10
	v_cndmask_b32_e32 v10, v11, v10, vcc
	v_lshlrev_b32_e32 v10, 24, v10
	v_cmp_lt_i16_sdwa s[28:29], sext(v38), v51 src0_sel:BYTE_0 src1_sel:DWORD
	v_or3_b32 v8, v10, v9, v2
	s_and_b64 vcc, s[88:89], s[28:29]
	v_sub_u16_e32 v2, 0, v38
	v_cndmask_b32_e32 v2, v38, v2, vcc
	v_and_b32_e32 v2, 0xff, v2
	v_mul_hi_u32 v9, v2, s92
	v_mul_lo_u32 v10, s27, v9
	v_sub_u32_e32 v2, v2, v10
	v_cmp_le_u32_e64 s[28:29], s27, v2
	v_addc_co_u32_e64 v2, s[28:29], 0, v9, s[28:29]
	v_sub_u32_e32 v9, 0, v2
	v_and_b32_e32 v10, 0x8000, v37
	v_cndmask_b32_e32 v2, v2, v9, vcc
	v_lshrrev_b32_e32 v9, 8, v36
	v_cmp_ne_u32_e32 vcc, 0, v10
	s_and_b64 vcc, s[88:89], vcc
	v_sub_u16_e32 v10, 0, v9
	v_cndmask_b32_e32 v9, v9, v10, vcc
	v_and_b32_e32 v9, 0xff, v9
	v_mul_hi_u32 v10, v9, s92
	v_mul_lo_u32 v11, s27, v10
	v_sub_u32_e32 v9, v9, v11
	v_cmp_le_u32_e64 s[28:29], s27, v9
	v_addc_co_u32_e64 v9, s[28:29], 0, v10, s[28:29]
	v_sub_u32_e32 v10, 0, v9
	v_cndmask_b32_e32 v9, v9, v10, vcc
	v_lshrrev_b32_e32 v10, 16, v38
	v_cmp_lt_i16_sdwa s[28:29], sext(v10), v51 src0_sel:BYTE_0 src1_sel:DWORD
	s_and_b64 vcc, s[88:89], s[28:29]
	v_sub_u16_e32 v11, 0, v10
	v_cndmask_b32_e32 v10, v10, v11, vcc
	v_and_b32_e32 v10, 0xff, v10
	v_mul_hi_u32 v11, v10, s92
	v_lshlrev_b32_e32 v9, 8, v9
	v_perm_b32 v2, v9, v2, s99
	v_mul_lo_u32 v12, s27, v11
	v_sub_u32_e32 v10, v10, v12
	v_cmp_le_u32_e64 s[28:29], s27, v10
	v_addc_co_u32_e64 v10, s[28:29], 0, v11, s[28:29]
	v_sub_u32_e32 v11, 0, v10
	v_cndmask_b32_e32 v10, v10, v11, vcc
	v_lshrrev_b32_e32 v11, 24, v36
	v_and_b32_e32 v12, s30, v37
	v_cmp_lt_i32_e32 vcc, -1, v12
	v_sub_u16_e32 v12, 0, v11
	v_cndmask_b32_e32 v11, v12, v11, vcc
	v_and_b32_e32 v11, 0xff, v11
	v_mul_hi_u32 v12, v11, s92
	v_and_b32_e32 v10, 0xff, v10
	v_lshlrev_b32_e32 v10, 16, v10
	v_mul_lo_u32 v13, s27, v12
	v_sub_u32_e32 v11, v11, v13
	v_cmp_le_u32_e64 s[28:29], s27, v11
	v_addc_co_u32_e64 v11, s[28:29], 0, v12, s[28:29]
	v_sub_u32_e32 v12, 0, v11
	v_cndmask_b32_e32 v11, v12, v11, vcc
	v_lshlrev_b32_e32 v11, 24, v11
	v_cmp_lt_i16_sdwa s[28:29], sext(v3), v51 src0_sel:BYTE_0 src1_sel:DWORD
	v_or3_b32 v9, v11, v10, v2
	s_and_b64 vcc, s[88:89], s[28:29]
	v_sub_u16_e32 v2, 0, v3
	v_cndmask_b32_e32 v2, v3, v2, vcc
	v_and_b32_e32 v2, 0xff, v2
	v_mul_hi_u32 v10, v2, s92
	v_lshrrev_b32_e32 v3, 16, v3
	v_mul_lo_u32 v11, s27, v10
	v_sub_u32_e32 v2, v2, v11
	v_cmp_le_u32_e64 s[28:29], s27, v2
	v_addc_co_u32_e64 v2, s[28:29], 0, v10, s[28:29]
	v_sub_u32_e32 v10, 0, v2
	v_and_b32_e32 v11, 0x8000, v1
	v_cndmask_b32_e32 v2, v2, v10, vcc
	v_lshrrev_b32_e32 v10, 8, v0
	v_cmp_ne_u32_e32 vcc, 0, v11
	s_and_b64 vcc, s[88:89], vcc
	v_sub_u16_e32 v11, 0, v10
	v_cndmask_b32_e32 v10, v10, v11, vcc
	v_and_b32_e32 v10, 0xff, v10
	v_mul_hi_u32 v11, v10, s92
	v_lshrrev_b32_e32 v0, 24, v0
	v_and_b32_e32 v1, s30, v1
	v_mul_lo_u32 v12, s27, v11
	v_sub_u32_e32 v10, v10, v12
	v_cmp_le_u32_e64 s[28:29], s27, v10
	v_addc_co_u32_e64 v10, s[28:29], 0, v11, s[28:29]
	v_sub_u32_e32 v11, 0, v10
	v_cmp_lt_i16_sdwa s[28:29], sext(v3), v51 src0_sel:BYTE_0 src1_sel:DWORD
	v_cndmask_b32_e32 v10, v10, v11, vcc
	s_and_b64 vcc, s[88:89], s[28:29]
	v_sub_u16_e32 v11, 0, v3
	v_cndmask_b32_e32 v3, v3, v11, vcc
	v_and_b32_e32 v3, 0xff, v3
	v_mul_hi_u32 v11, v3, s92
	v_lshlrev_b32_e32 v10, 8, v10
	v_perm_b32 v2, v10, v2, s99
	v_mul_lo_u32 v12, s27, v11
	v_sub_u32_e32 v3, v3, v12
	v_cmp_le_u32_e64 s[28:29], s27, v3
	v_addc_co_u32_e64 v3, s[28:29], 0, v11, s[28:29]
	v_sub_u32_e32 v11, 0, v3
	v_cndmask_b32_e32 v3, v3, v11, vcc
	v_cmp_lt_i32_e32 vcc, -1, v1
	v_sub_u16_e32 v1, 0, v0
	v_cndmask_b32_e32 v0, v1, v0, vcc
	v_and_b32_e32 v0, 0xff, v0
	v_mul_hi_u32 v1, v0, s92
	v_and_b32_e32 v3, 0xff, v3
	v_mul_lo_u32 v11, s27, v1
	v_sub_u32_e32 v0, v0, v11
	v_cmp_le_u32_e64 s[28:29], s27, v0
	v_addc_co_u32_e64 v0, s[28:29], 0, v1, s[28:29]
	v_sub_u32_e32 v1, 0, v0
	v_cndmask_b32_e32 v0, v1, v0, vcc
	v_lshlrev_b32_e32 v1, 16, v3
	v_lshlrev_b32_e32 v0, 24, v0
	v_cmp_lt_i16_sdwa s[28:29], sext(v7), v51 src0_sel:BYTE_0 src1_sel:DWORD
	v_or3_b32 v10, v0, v1, v2
	s_and_b64 vcc, s[88:89], s[28:29]
	v_sub_u16_e32 v0, 0, v7
	v_cndmask_b32_e32 v0, v7, v0, vcc
	v_and_b32_e32 v0, 0xff, v0
	v_mul_hi_u32 v1, v0, s92
	v_mul_lo_u32 v2, s27, v1
	v_sub_u32_e32 v0, v0, v2
	v_cmp_le_u32_e64 s[28:29], s27, v0
	v_addc_co_u32_e64 v0, s[28:29], 0, v1, s[28:29]
	v_sub_u32_e32 v1, 0, v0
	v_and_b32_e32 v2, 0x8000, v41
	v_cndmask_b32_e32 v0, v0, v1, vcc
	v_lshrrev_b32_e32 v1, 8, v40
	v_cmp_ne_u32_e32 vcc, 0, v2
	s_and_b64 vcc, s[88:89], vcc
	v_sub_u16_e32 v2, 0, v1
	v_cndmask_b32_e32 v1, v1, v2, vcc
	v_and_b32_e32 v1, 0xff, v1
	v_mul_hi_u32 v2, v1, s92
	v_mul_lo_u32 v3, s27, v2
	v_sub_u32_e32 v1, v1, v3
	v_cmp_le_u32_e64 s[28:29], s27, v1
	v_addc_co_u32_e64 v1, s[28:29], 0, v2, s[28:29]
	v_sub_u32_e32 v2, 0, v1
	v_cndmask_b32_e32 v1, v1, v2, vcc
	v_lshrrev_b32_e32 v2, 16, v7
	v_cmp_lt_i16_sdwa s[28:29], sext(v2), v51 src0_sel:BYTE_0 src1_sel:DWORD
	s_and_b64 vcc, s[88:89], s[28:29]
	v_sub_u16_e32 v3, 0, v2
	v_cndmask_b32_e32 v2, v2, v3, vcc
	v_and_b32_e32 v2, 0xff, v2
	v_mul_hi_u32 v3, v2, s92
	v_lshlrev_b32_e32 v1, 8, v1
	v_perm_b32 v0, v1, v0, s99
	v_mul_lo_u32 v7, s27, v3
	v_sub_u32_e32 v2, v2, v7
	v_cmp_le_u32_e64 s[28:29], s27, v2
	v_addc_co_u32_e64 v2, s[28:29], 0, v3, s[28:29]
	v_sub_u32_e32 v3, 0, v2
	v_cndmask_b32_e32 v2, v2, v3, vcc
	v_lshrrev_b32_e32 v3, 24, v40
	v_and_b32_e32 v7, s30, v41
	v_cmp_lt_i32_e32 vcc, -1, v7
	v_sub_u16_e32 v7, 0, v3
	v_cndmask_b32_e32 v3, v7, v3, vcc
	v_and_b32_e32 v3, 0xff, v3
	v_mul_hi_u32 v7, v3, s92
	v_and_b32_e32 v2, 0xff, v2
	v_lshlrev_b32_e32 v2, 16, v2
	v_mul_lo_u32 v11, s27, v7
	v_sub_u32_e32 v3, v3, v11
	v_cmp_le_u32_e64 s[28:29], s27, v3
	v_addc_co_u32_e64 v3, s[28:29], 0, v7, s[28:29]
	v_sub_u32_e32 v7, 0, v3
	v_cndmask_b32_e32 v3, v7, v3, vcc
	v_lshlrev_b32_e32 v3, 24, v3
	v_cmp_lt_i16_sdwa s[28:29], sext(v5), v51 src0_sel:BYTE_0 src1_sel:DWORD
	v_or3_b32 v11, v3, v2, v0
	s_and_b64 vcc, s[88:89], s[28:29]
	v_sub_u16_e32 v0, 0, v5
	v_cndmask_b32_e32 v0, v5, v0, vcc
	v_and_b32_e32 v0, 0xff, v0
	v_mul_hi_u32 v1, v0, s92
	v_mul_lo_u32 v2, s27, v1
	v_sub_u32_e32 v0, v0, v2
	v_cmp_le_u32_e64 s[28:29], s27, v0
	v_addc_co_u32_e64 v0, s[28:29], 0, v1, s[28:29]
	v_sub_u32_e32 v1, 0, v0
	v_and_b32_e32 v2, 0x8000, v24
	v_cndmask_b32_e32 v0, v0, v1, vcc
	v_lshrrev_b32_e32 v1, 8, v59
	v_cmp_ne_u32_e32 vcc, 0, v2
	s_and_b64 vcc, s[88:89], vcc
	v_sub_u16_e32 v2, 0, v1
	v_cndmask_b32_e32 v1, v1, v2, vcc
	v_and_b32_e32 v1, 0xff, v1
	v_mul_hi_u32 v2, v1, s92
	v_mul_lo_u32 v3, s27, v2
	v_sub_u32_e32 v1, v1, v3
	v_cmp_le_u32_e64 s[28:29], s27, v1
	v_addc_co_u32_e64 v1, s[28:29], 0, v2, s[28:29]
	v_sub_u32_e32 v2, 0, v1
	v_cndmask_b32_e32 v1, v1, v2, vcc
	v_lshrrev_b32_e32 v2, 16, v5
	v_cmp_lt_i16_sdwa s[28:29], sext(v2), v51 src0_sel:BYTE_0 src1_sel:DWORD
	s_and_b64 vcc, s[88:89], s[28:29]
	v_sub_u16_e32 v3, 0, v2
	v_cndmask_b32_e32 v2, v2, v3, vcc
	v_and_b32_e32 v2, 0xff, v2
	v_mul_hi_u32 v3, v2, s92
	v_lshlrev_b32_e32 v1, 8, v1
	v_perm_b32 v0, v1, v0, s99
	v_mul_lo_u32 v5, s27, v3
	v_sub_u32_e32 v2, v2, v5
	v_cmp_le_u32_e64 s[28:29], s27, v2
	v_addc_co_u32_e64 v2, s[28:29], 0, v3, s[28:29]
	v_sub_u32_e32 v3, 0, v2
	v_cndmask_b32_e32 v2, v2, v3, vcc
	v_lshrrev_b32_e32 v3, 24, v59
	v_and_b32_e32 v5, s30, v24
	v_cmp_lt_i32_e32 vcc, -1, v5
	v_sub_u16_e32 v5, 0, v3
	v_cndmask_b32_e32 v3, v5, v3, vcc
	v_and_b32_e32 v3, 0xff, v3
	v_mul_hi_u32 v5, v3, s92
	v_and_b32_e32 v2, 0xff, v2
	v_lshlrev_b32_e32 v2, 16, v2
	v_mul_lo_u32 v7, s27, v5
	v_sub_u32_e32 v3, v3, v7
	v_cmp_le_u32_e64 s[28:29], s27, v3
	v_addc_co_u32_e64 v3, s[28:29], 0, v5, s[28:29]
	v_sub_u32_e32 v5, 0, v3
	v_cndmask_b32_e32 v3, v5, v3, vcc
	v_lshlrev_b32_e32 v3, 24, v3
	v_cmp_lt_i16_sdwa s[28:29], sext(v57), v51 src0_sel:BYTE_0 src1_sel:DWORD
	v_or3_b32 v12, v3, v2, v0
	s_and_b64 vcc, s[88:89], s[28:29]
	v_sub_u16_e32 v0, 0, v57
	v_cndmask_b32_e32 v0, v57, v0, vcc
	v_and_b32_e32 v0, 0xff, v0
	v_mul_hi_u32 v1, v0, s92
	buffer_load_dword v7, off, s[0:3], s33 offset:108 ; 4-byte Folded Reload
	v_mul_lo_u32 v2, s27, v1
	v_sub_u32_e32 v0, v0, v2
	v_cmp_le_u32_e64 s[28:29], s27, v0
	v_addc_co_u32_e64 v0, s[28:29], 0, v1, s[28:29]
	v_sub_u32_e32 v1, 0, v0
	v_and_b32_e32 v2, 0x8000, v56
	v_cndmask_b32_e32 v0, v0, v1, vcc
	v_lshrrev_b32_e32 v1, 8, v6
	v_cmp_ne_u32_e32 vcc, 0, v2
	s_and_b64 vcc, s[88:89], vcc
	v_sub_u16_e32 v2, 0, v1
	v_cndmask_b32_e32 v1, v1, v2, vcc
	v_and_b32_e32 v1, 0xff, v1
	v_mul_hi_u32 v2, v1, s92
	v_mul_lo_u32 v3, s27, v2
	v_sub_u32_e32 v1, v1, v3
	v_cmp_le_u32_e64 s[28:29], s27, v1
	v_addc_co_u32_e64 v1, s[28:29], 0, v2, s[28:29]
	v_sub_u32_e32 v2, 0, v1
	v_cndmask_b32_e32 v1, v1, v2, vcc
	v_lshrrev_b32_e32 v2, 16, v57
	v_cmp_lt_i16_sdwa s[28:29], sext(v2), v51 src0_sel:BYTE_0 src1_sel:DWORD
	s_and_b64 vcc, s[88:89], s[28:29]
	v_sub_u16_e32 v3, 0, v2
	v_cndmask_b32_e32 v2, v2, v3, vcc
	v_and_b32_e32 v2, 0xff, v2
	v_mul_hi_u32 v3, v2, s92
	v_lshlrev_b32_e32 v1, 8, v1
	v_perm_b32 v0, v1, v0, s99
	v_mul_lo_u32 v5, s27, v3
	v_sub_u32_e32 v2, v2, v5
	v_cmp_le_u32_e64 s[28:29], s27, v2
	v_addc_co_u32_e64 v2, s[28:29], 0, v3, s[28:29]
	v_sub_u32_e32 v3, 0, v2
	v_cndmask_b32_e32 v2, v2, v3, vcc
	v_lshrrev_b32_e32 v3, 24, v6
	v_and_b32_e32 v5, s30, v56
	v_cmp_lt_i32_e32 vcc, -1, v5
	v_sub_u16_e32 v5, 0, v3
	v_cndmask_b32_e32 v3, v5, v3, vcc
	v_and_b32_e32 v3, 0xff, v3
	v_mul_hi_u32 v5, v3, s92
	v_and_b32_e32 v2, 0xff, v2
	v_lshlrev_b32_e32 v2, 16, v2
	v_mul_lo_u32 v6, s27, v5
	v_sub_u32_e32 v3, v3, v6
	v_cmp_le_u32_e64 s[28:29], s27, v3
	v_addc_co_u32_e64 v3, s[28:29], 0, v5, s[28:29]
	v_sub_u32_e32 v5, 0, v3
	v_cndmask_b32_e32 v3, v5, v3, vcc
	v_lshlrev_b32_e32 v3, 24, v3
	v_cmp_lt_i16_sdwa s[28:29], sext(v47), v51 src0_sel:BYTE_0 src1_sel:DWORD
	v_or3_b32 v13, v3, v2, v0
	s_and_b64 vcc, s[88:89], s[28:29]
	v_sub_u16_e32 v0, 0, v47
	v_cndmask_b32_e32 v0, v47, v0, vcc
	v_and_b32_e32 v0, 0xff, v0
	v_mul_hi_u32 v1, v0, s92
	v_mul_lo_u32 v2, s27, v1
	v_sub_u32_e32 v0, v0, v2
	v_cmp_le_u32_e64 s[28:29], s27, v0
	v_addc_co_u32_e64 v0, s[28:29], 0, v1, s[28:29]
	v_sub_u32_e32 v1, 0, v0
	v_and_b32_e32 v2, 0x8000, v25
	v_cndmask_b32_e32 v0, v0, v1, vcc
	v_lshrrev_b32_e32 v1, 8, v46
	v_cmp_ne_u32_e32 vcc, 0, v2
	s_and_b64 vcc, s[88:89], vcc
	v_sub_u16_e32 v2, 0, v1
	v_cndmask_b32_e32 v1, v1, v2, vcc
	v_and_b32_e32 v1, 0xff, v1
	v_mul_hi_u32 v2, v1, s92
	v_mul_lo_u32 v3, s27, v2
	v_sub_u32_e32 v1, v1, v3
	v_cmp_le_u32_e64 s[28:29], s27, v1
	v_addc_co_u32_e64 v1, s[28:29], 0, v2, s[28:29]
	v_sub_u32_e32 v2, 0, v1
	v_cndmask_b32_e32 v1, v1, v2, vcc
	v_lshrrev_b32_e32 v2, 16, v47
	v_cmp_lt_i16_sdwa s[28:29], sext(v2), v51 src0_sel:BYTE_0 src1_sel:DWORD
	s_and_b64 vcc, s[88:89], s[28:29]
	v_sub_u16_e32 v3, 0, v2
	v_cndmask_b32_e32 v2, v2, v3, vcc
	v_and_b32_e32 v2, 0xff, v2
	v_mul_hi_u32 v3, v2, s92
	v_lshlrev_b32_e32 v1, 8, v1
	v_perm_b32 v0, v1, v0, s99
	v_mul_lo_u32 v5, s27, v3
	v_sub_u32_e32 v2, v2, v5
	v_cmp_le_u32_e64 s[28:29], s27, v2
	v_addc_co_u32_e64 v2, s[28:29], 0, v3, s[28:29]
	v_sub_u32_e32 v3, 0, v2
	v_cndmask_b32_e32 v2, v2, v3, vcc
	v_lshrrev_b32_e32 v3, 24, v46
	v_and_b32_e32 v5, s30, v25
	v_cmp_lt_i32_e32 vcc, -1, v5
	v_sub_u16_e32 v5, 0, v3
	v_cndmask_b32_e32 v3, v5, v3, vcc
	v_and_b32_e32 v3, 0xff, v3
	v_mul_hi_u32 v5, v3, s92
	v_and_b32_e32 v2, 0xff, v2
	v_lshlrev_b32_e32 v2, 16, v2
	v_mul_lo_u32 v6, s27, v5
	v_sub_u32_e32 v3, v3, v6
	v_cmp_le_u32_e64 s[28:29], s27, v3
	v_addc_co_u32_e64 v3, s[28:29], 0, v5, s[28:29]
	v_sub_u32_e32 v5, 0, v3
	v_cndmask_b32_e32 v3, v5, v3, vcc
	v_lshlrev_b32_e32 v3, 24, v3
	v_cmp_lt_i16_sdwa s[28:29], sext(v55), v51 src0_sel:BYTE_0 src1_sel:DWORD
	v_or3_b32 v14, v3, v2, v0
	s_and_b64 vcc, s[88:89], s[28:29]
	v_sub_u16_e32 v0, 0, v55
	v_cndmask_b32_e32 v0, v55, v0, vcc
	v_and_b32_e32 v0, 0xff, v0
	v_mul_hi_u32 v1, v0, s92
	;; [unrolled: 58-line block ×3, first 2 shown]
	v_mul_lo_u32 v2, s27, v1
	v_sub_u32_e32 v0, v0, v2
	v_cmp_le_u32_e64 s[28:29], s27, v0
	v_addc_co_u32_e64 v0, s[28:29], 0, v1, s[28:29]
	v_sub_u32_e32 v1, 0, v0
	v_and_b32_e32 v2, 0x8000, v44
	v_cndmask_b32_e32 v0, v0, v1, vcc
	v_lshrrev_b32_e32 v1, 8, v16
	v_cmp_ne_u32_e32 vcc, 0, v2
	s_and_b64 vcc, s[88:89], vcc
	v_sub_u16_e32 v2, 0, v1
	v_cndmask_b32_e32 v1, v1, v2, vcc
	v_and_b32_e32 v1, 0xff, v1
	v_mul_hi_u32 v2, v1, s92
	v_mul_lo_u32 v3, s27, v2
	v_sub_u32_e32 v1, v1, v3
	v_cmp_le_u32_e64 s[28:29], s27, v1
	v_addc_co_u32_e64 v1, s[28:29], 0, v2, s[28:29]
	v_sub_u32_e32 v2, 0, v1
	v_cndmask_b32_e32 v1, v1, v2, vcc
	v_lshrrev_b32_e32 v2, 16, v4
	v_cmp_lt_i16_sdwa s[28:29], sext(v2), v51 src0_sel:BYTE_0 src1_sel:DWORD
	s_and_b64 vcc, s[88:89], s[28:29]
	v_sub_u16_e32 v3, 0, v2
	v_cndmask_b32_e32 v2, v2, v3, vcc
	v_and_b32_e32 v2, 0xff, v2
	v_mul_hi_u32 v3, v2, s92
	v_lshlrev_b32_e32 v1, 8, v1
	v_perm_b32 v0, v1, v0, s99
	v_mul_lo_u32 v4, s27, v3
	v_sub_u32_e32 v2, v2, v4
	v_cmp_le_u32_e64 s[28:29], s27, v2
	v_addc_co_u32_e64 v2, s[28:29], 0, v3, s[28:29]
	v_sub_u32_e32 v3, 0, v2
	v_cndmask_b32_e32 v2, v2, v3, vcc
	v_lshrrev_b32_e32 v3, 24, v16
	v_and_b32_e32 v4, s30, v44
	v_cmp_lt_i32_e32 vcc, -1, v4
	v_sub_u16_e32 v4, 0, v3
	v_cndmask_b32_e32 v3, v4, v3, vcc
	v_and_b32_e32 v3, 0xff, v3
	v_mul_hi_u32 v4, v3, s92
	v_and_b32_e32 v2, 0xff, v2
	v_lshlrev_b32_e32 v2, 16, v2
	buffer_load_dword v44, off, s[0:3], s33 offset:96 ; 4-byte Folded Reload
	v_mul_lo_u32 v5, s27, v4
	v_sub_u32_e32 v3, v3, v5
	v_cmp_le_u32_e64 s[28:29], s27, v3
	v_addc_co_u32_e64 v3, s[28:29], 0, v4, s[28:29]
	v_sub_u32_e32 v4, 0, v3
	v_cndmask_b32_e32 v3, v4, v3, vcc
	v_lshlrev_b32_e32 v3, 24, v3
	v_cmp_lt_i16_sdwa s[28:29], sext(v39), v51 src0_sel:BYTE_0 src1_sel:DWORD
	v_or3_b32 v16, v3, v2, v0
	s_and_b64 vcc, s[88:89], s[28:29]
	v_sub_u16_e32 v0, 0, v39
	v_cndmask_b32_e32 v0, v39, v0, vcc
	v_and_b32_e32 v0, 0xff, v0
	v_mul_hi_u32 v1, v0, s92
	v_mul_lo_u32 v2, s27, v1
	v_sub_u32_e32 v0, v0, v2
	v_cmp_le_u32_e64 s[28:29], s27, v0
	v_addc_co_u32_e64 v0, s[28:29], 0, v1, s[28:29]
	v_sub_u32_e32 v1, 0, v0
	v_and_b32_e32 v2, 0x8000, v58
	v_cndmask_b32_e32 v0, v0, v1, vcc
	v_lshrrev_b32_e32 v1, 8, v17
	v_cmp_ne_u32_e32 vcc, 0, v2
	s_and_b64 vcc, s[88:89], vcc
	v_sub_u16_e32 v2, 0, v1
	v_cndmask_b32_e32 v1, v1, v2, vcc
	v_and_b32_e32 v1, 0xff, v1
	v_mul_hi_u32 v2, v1, s92
	v_mul_lo_u32 v3, s27, v2
	v_sub_u32_e32 v1, v1, v3
	v_cmp_le_u32_e64 s[28:29], s27, v1
	v_addc_co_u32_e64 v1, s[28:29], 0, v2, s[28:29]
	v_sub_u32_e32 v2, 0, v1
	v_cndmask_b32_e32 v1, v1, v2, vcc
	v_lshrrev_b32_e32 v2, 16, v39
	v_cmp_lt_i16_sdwa s[28:29], sext(v2), v51 src0_sel:BYTE_0 src1_sel:DWORD
	s_and_b64 vcc, s[88:89], s[28:29]
	v_sub_u16_e32 v3, 0, v2
	v_cndmask_b32_e32 v2, v2, v3, vcc
	v_and_b32_e32 v2, 0xff, v2
	v_mul_hi_u32 v3, v2, s92
	v_lshlrev_b32_e32 v1, 8, v1
	v_perm_b32 v0, v1, v0, s99
	v_mul_lo_u32 v4, s27, v3
	v_sub_u32_e32 v2, v2, v4
	v_cmp_le_u32_e64 s[28:29], s27, v2
	v_addc_co_u32_e64 v2, s[28:29], 0, v3, s[28:29]
	v_sub_u32_e32 v3, 0, v2
	v_cndmask_b32_e32 v2, v2, v3, vcc
	v_lshrrev_b32_e32 v3, 24, v17
	v_and_b32_e32 v4, s30, v58
	v_cmp_lt_i32_e32 vcc, -1, v4
	v_sub_u16_e32 v4, 0, v3
	v_cndmask_b32_e32 v3, v4, v3, vcc
	v_and_b32_e32 v3, 0xff, v3
	v_mul_hi_u32 v4, v3, s92
	v_and_b32_e32 v2, 0xff, v2
	v_lshlrev_b32_e32 v2, 16, v2
	buffer_load_dword v58, off, s[0:3], s33 offset:76 ; 4-byte Folded Reload
	v_mul_lo_u32 v5, s27, v4
	v_sub_u32_e32 v3, v3, v5
	v_cmp_le_u32_e64 s[28:29], s27, v3
	v_addc_co_u32_e64 v3, s[28:29], 0, v4, s[28:29]
	v_sub_u32_e32 v4, 0, v3
	v_cndmask_b32_e32 v3, v4, v3, vcc
	v_lshlrev_b32_e32 v3, 24, v3
	v_cmp_lt_i16_sdwa s[28:29], sext(v20), v51 src0_sel:BYTE_0 src1_sel:DWORD
	v_or3_b32 v17, v3, v2, v0
	s_and_b64 vcc, s[88:89], s[28:29]
	v_sub_u16_e32 v0, 0, v20
	v_cndmask_b32_e32 v0, v20, v0, vcc
	v_and_b32_e32 v0, 0xff, v0
	v_mul_hi_u32 v1, v0, s92
	v_mul_lo_u32 v2, s27, v1
	v_sub_u32_e32 v0, v0, v2
	v_cmp_le_u32_e64 s[28:29], s27, v0
	v_addc_co_u32_e64 v0, s[28:29], 0, v1, s[28:29]
	v_sub_u32_e32 v1, 0, v0
	s_waitcnt vmcnt(1)
	v_and_b32_e32 v2, 0x8000, v44
	v_cndmask_b32_e32 v0, v0, v1, vcc
	v_lshrrev_b32_e32 v1, 8, v18
	v_cmp_ne_u32_e32 vcc, 0, v2
	s_and_b64 vcc, s[88:89], vcc
	v_sub_u16_e32 v2, 0, v1
	v_cndmask_b32_e32 v1, v1, v2, vcc
	v_and_b32_e32 v1, 0xff, v1
	v_mul_hi_u32 v2, v1, s92
	v_mul_lo_u32 v3, s27, v2
	v_sub_u32_e32 v1, v1, v3
	v_cmp_le_u32_e64 s[28:29], s27, v1
	v_addc_co_u32_e64 v1, s[28:29], 0, v2, s[28:29]
	v_sub_u32_e32 v2, 0, v1
	v_cndmask_b32_e32 v1, v1, v2, vcc
	v_lshrrev_b32_e32 v2, 16, v20
	v_cmp_lt_i16_sdwa s[28:29], sext(v2), v51 src0_sel:BYTE_0 src1_sel:DWORD
	s_and_b64 vcc, s[88:89], s[28:29]
	v_sub_u16_e32 v3, 0, v2
	v_cndmask_b32_e32 v2, v2, v3, vcc
	v_and_b32_e32 v2, 0xff, v2
	v_mul_hi_u32 v3, v2, s92
	v_lshlrev_b32_e32 v1, 8, v1
	v_perm_b32 v0, v1, v0, s99
	v_mul_lo_u32 v4, s27, v3
	v_sub_u32_e32 v2, v2, v4
	v_and_b32_e32 v4, s30, v44
	buffer_load_dword v44, off, s[0:3], s33 offset:92 ; 4-byte Folded Reload
	v_cmp_le_u32_e64 s[28:29], s27, v2
	v_addc_co_u32_e64 v2, s[28:29], 0, v3, s[28:29]
	v_sub_u32_e32 v3, 0, v2
	v_cndmask_b32_e32 v2, v2, v3, vcc
	v_lshrrev_b32_e32 v3, 24, v18
	v_cmp_lt_i32_e32 vcc, -1, v4
	v_sub_u16_e32 v4, 0, v3
	v_cndmask_b32_e32 v3, v4, v3, vcc
	v_and_b32_e32 v3, 0xff, v3
	v_mul_hi_u32 v4, v3, s92
	v_and_b32_e32 v2, 0xff, v2
	v_lshlrev_b32_e32 v2, 16, v2
	v_mul_lo_u32 v5, s27, v4
	v_sub_u32_e32 v3, v3, v5
	v_cmp_le_u32_e64 s[28:29], s27, v3
	v_addc_co_u32_e64 v3, s[28:29], 0, v4, s[28:29]
	v_sub_u32_e32 v4, 0, v3
	v_cndmask_b32_e32 v3, v4, v3, vcc
	v_lshlrev_b32_e32 v3, 24, v3
	v_cmp_lt_i16_sdwa s[28:29], sext(v35), v51 src0_sel:BYTE_0 src1_sel:DWORD
	v_or3_b32 v18, v3, v2, v0
	s_and_b64 vcc, s[88:89], s[28:29]
	v_sub_u16_e32 v0, 0, v35
	v_cndmask_b32_e32 v0, v35, v0, vcc
	v_and_b32_e32 v0, 0xff, v0
	v_mul_hi_u32 v1, v0, s92
	v_mul_lo_u32 v2, s27, v1
	v_sub_u32_e32 v0, v0, v2
	v_cmp_le_u32_e64 s[28:29], s27, v0
	v_addc_co_u32_e64 v0, s[28:29], 0, v1, s[28:29]
	v_sub_u32_e32 v1, 0, v0
	v_cndmask_b32_e32 v0, v0, v1, vcc
	v_lshrrev_b32_e32 v1, 8, v19
	s_waitcnt vmcnt(0)
	v_and_b32_e32 v2, 0x8000, v44
	v_cmp_ne_u32_e32 vcc, 0, v2
	s_and_b64 vcc, s[88:89], vcc
	v_sub_u16_e32 v2, 0, v1
	v_cndmask_b32_e32 v1, v1, v2, vcc
	v_and_b32_e32 v1, 0xff, v1
	v_mul_hi_u32 v2, v1, s92
	v_mul_lo_u32 v3, s27, v2
	v_sub_u32_e32 v1, v1, v3
	v_cmp_le_u32_e64 s[28:29], s27, v1
	v_addc_co_u32_e64 v1, s[28:29], 0, v2, s[28:29]
	v_sub_u32_e32 v2, 0, v1
	v_cndmask_b32_e32 v1, v1, v2, vcc
	v_lshrrev_b32_e32 v2, 16, v35
	v_cmp_lt_i16_sdwa s[28:29], sext(v2), v51 src0_sel:BYTE_0 src1_sel:DWORD
	s_and_b64 vcc, s[88:89], s[28:29]
	v_sub_u16_e32 v3, 0, v2
	v_cndmask_b32_e32 v2, v2, v3, vcc
	v_and_b32_e32 v2, 0xff, v2
	v_mul_hi_u32 v3, v2, s92
	v_lshlrev_b32_e32 v1, 8, v1
	v_perm_b32 v0, v1, v0, s99
	v_mul_lo_u32 v4, s27, v3
	v_sub_u32_e32 v2, v2, v4
	v_and_b32_e32 v4, s30, v44
	buffer_load_dword v44, off, s[0:3], s33 offset:88 ; 4-byte Folded Reload
	v_cmp_le_u32_e64 s[28:29], s27, v2
	v_addc_co_u32_e64 v2, s[28:29], 0, v3, s[28:29]
	v_sub_u32_e32 v3, 0, v2
	v_cndmask_b32_e32 v2, v2, v3, vcc
	v_lshrrev_b32_e32 v3, 24, v19
	v_cmp_lt_i32_e32 vcc, -1, v4
	v_sub_u16_e32 v4, 0, v3
	v_cndmask_b32_e32 v3, v4, v3, vcc
	v_and_b32_e32 v3, 0xff, v3
	v_mul_hi_u32 v4, v3, s92
	v_and_b32_e32 v2, 0xff, v2
	v_lshlrev_b32_e32 v2, 16, v2
	v_mul_lo_u32 v5, s27, v4
	v_sub_u32_e32 v3, v3, v5
	v_cmp_le_u32_e64 s[28:29], s27, v3
	v_addc_co_u32_e64 v3, s[28:29], 0, v4, s[28:29]
	v_sub_u32_e32 v4, 0, v3
	v_cndmask_b32_e32 v3, v4, v3, vcc
	v_lshlrev_b32_e32 v3, 24, v3
	v_cmp_lt_i16_sdwa s[28:29], sext(v34), v51 src0_sel:BYTE_0 src1_sel:DWORD
	v_or3_b32 v19, v3, v2, v0
	s_and_b64 vcc, s[88:89], s[28:29]
	v_sub_u16_e32 v0, 0, v34
	v_cndmask_b32_e32 v0, v34, v0, vcc
	v_and_b32_e32 v0, 0xff, v0
	v_mul_hi_u32 v1, v0, s92
	v_mul_lo_u32 v2, s27, v1
	v_sub_u32_e32 v0, v0, v2
	v_cmp_le_u32_e64 s[28:29], s27, v0
	v_addc_co_u32_e64 v0, s[28:29], 0, v1, s[28:29]
	v_sub_u32_e32 v1, 0, v0
	v_cndmask_b32_e32 v0, v0, v1, vcc
	v_lshrrev_b32_e32 v1, 8, v33
	s_waitcnt vmcnt(0)
	v_and_b32_e32 v2, 0x8000, v44
	;; [unrolled: 60-line block ×3, first 2 shown]
	v_cmp_ne_u32_e32 vcc, 0, v2
	s_and_b64 vcc, s[88:89], vcc
	v_sub_u16_e32 v2, 0, v1
	v_cndmask_b32_e32 v1, v1, v2, vcc
	v_and_b32_e32 v1, 0xff, v1
	v_mul_hi_u32 v2, v1, s92
	v_mul_lo_u32 v3, s27, v2
	v_sub_u32_e32 v1, v1, v3
	v_cmp_le_u32_e64 s[28:29], s27, v1
	v_addc_co_u32_e64 v1, s[28:29], 0, v2, s[28:29]
	v_sub_u32_e32 v2, 0, v1
	v_cndmask_b32_e32 v1, v1, v2, vcc
	v_lshrrev_b32_e32 v2, 16, v32
	v_cmp_lt_i16_sdwa s[28:29], sext(v2), v51 src0_sel:BYTE_0 src1_sel:DWORD
	s_and_b64 vcc, s[88:89], s[28:29]
	v_sub_u16_e32 v3, 0, v2
	v_cndmask_b32_e32 v2, v2, v3, vcc
	v_and_b32_e32 v2, 0xff, v2
	v_mul_hi_u32 v3, v2, s92
	v_lshlrev_b32_e32 v1, 8, v1
	v_perm_b32 v0, v1, v0, s99
	v_mul_lo_u32 v4, s27, v3
	v_sub_u32_e32 v2, v2, v4
	v_cmp_le_u32_e64 s[28:29], s27, v2
	v_addc_co_u32_e64 v2, s[28:29], 0, v3, s[28:29]
	v_sub_u32_e32 v3, 0, v2
	v_cndmask_b32_e32 v2, v2, v3, vcc
	v_lshrrev_b32_e32 v3, 24, v21
	v_and_b32_e32 v4, s30, v44
	v_cmp_lt_i32_e32 vcc, -1, v4
	v_sub_u16_e32 v4, 0, v3
	v_cndmask_b32_e32 v3, v4, v3, vcc
	v_and_b32_e32 v3, 0xff, v3
	v_mul_hi_u32 v4, v3, s92
	v_and_b32_e32 v2, 0xff, v2
	v_lshlrev_b32_e32 v2, 16, v2
	buffer_load_dword v44, off, s[0:3], s33 offset:68 ; 4-byte Folded Reload
	v_mul_lo_u32 v5, s27, v4
	v_sub_u32_e32 v3, v3, v5
	v_cmp_le_u32_e64 s[28:29], s27, v3
	v_addc_co_u32_e64 v3, s[28:29], 0, v4, s[28:29]
	v_sub_u32_e32 v4, 0, v3
	v_cndmask_b32_e32 v3, v4, v3, vcc
	v_lshlrev_b32_e32 v3, 24, v3
	v_cmp_lt_i16_sdwa s[28:29], sext(v26), v51 src0_sel:BYTE_0 src1_sel:DWORD
	v_or3_b32 v21, v3, v2, v0
	s_and_b64 vcc, s[88:89], s[28:29]
	v_sub_u16_e32 v0, 0, v26
	v_cndmask_b32_e32 v0, v26, v0, vcc
	v_and_b32_e32 v0, 0xff, v0
	v_mul_hi_u32 v1, v0, s92
	v_mul_lo_u32 v2, s27, v1
	v_sub_u32_e32 v0, v0, v2
	v_cmp_le_u32_e64 s[28:29], s27, v0
	v_addc_co_u32_e64 v0, s[28:29], 0, v1, s[28:29]
	v_sub_u32_e32 v1, 0, v0
	v_and_b32_e32 v2, 0x8000, v58
	v_cndmask_b32_e32 v0, v0, v1, vcc
	v_lshrrev_b32_e32 v1, 8, v22
	v_cmp_ne_u32_e32 vcc, 0, v2
	s_and_b64 vcc, s[88:89], vcc
	v_sub_u16_e32 v2, 0, v1
	v_cndmask_b32_e32 v1, v1, v2, vcc
	v_and_b32_e32 v1, 0xff, v1
	v_mul_hi_u32 v2, v1, s92
	v_mul_lo_u32 v3, s27, v2
	v_sub_u32_e32 v1, v1, v3
	v_cmp_le_u32_e64 s[28:29], s27, v1
	v_addc_co_u32_e64 v1, s[28:29], 0, v2, s[28:29]
	v_sub_u32_e32 v2, 0, v1
	v_cndmask_b32_e32 v1, v1, v2, vcc
	v_lshrrev_b32_e32 v2, 16, v26
	v_cmp_lt_i16_sdwa s[28:29], sext(v2), v51 src0_sel:BYTE_0 src1_sel:DWORD
	s_and_b64 vcc, s[88:89], s[28:29]
	v_sub_u16_e32 v3, 0, v2
	v_cndmask_b32_e32 v2, v2, v3, vcc
	v_and_b32_e32 v2, 0xff, v2
	v_mul_hi_u32 v3, v2, s92
	v_lshlrev_b32_e32 v1, 8, v1
	v_perm_b32 v0, v1, v0, s99
	v_mul_lo_u32 v4, s27, v3
	v_sub_u32_e32 v2, v2, v4
	v_cmp_le_u32_e64 s[28:29], s27, v2
	v_addc_co_u32_e64 v2, s[28:29], 0, v3, s[28:29]
	v_sub_u32_e32 v3, 0, v2
	v_cndmask_b32_e32 v2, v2, v3, vcc
	v_lshrrev_b32_e32 v3, 24, v22
	v_and_b32_e32 v4, s30, v58
	v_cmp_lt_i32_e32 vcc, -1, v4
	v_sub_u16_e32 v4, 0, v3
	v_cndmask_b32_e32 v3, v4, v3, vcc
	v_and_b32_e32 v3, 0xff, v3
	v_mul_hi_u32 v4, v3, s92
	v_and_b32_e32 v2, 0xff, v2
	v_lshlrev_b32_e32 v2, 16, v2
	v_mul_lo_u32 v5, s27, v4
	v_sub_u32_e32 v3, v3, v5
	v_cmp_le_u32_e64 s[28:29], s27, v3
	v_addc_co_u32_e64 v3, s[28:29], 0, v4, s[28:29]
	v_sub_u32_e32 v4, 0, v3
	v_cndmask_b32_e32 v3, v4, v3, vcc
	buffer_load_dword v4, off, s[0:3], s33 offset:60 ; 4-byte Folded Reload
	v_lshlrev_b32_e32 v3, 24, v3
	v_cmp_lt_i16_sdwa s[28:29], sext(v23), v51 src0_sel:BYTE_0 src1_sel:DWORD
	v_or3_b32 v22, v3, v2, v0
	s_and_b64 vcc, s[88:89], s[28:29]
	v_sub_u16_e32 v0, 0, v23
	v_cndmask_b32_e32 v0, v23, v0, vcc
	v_and_b32_e32 v0, 0xff, v0
	v_mul_hi_u32 v1, v0, s92
	s_waitcnt vmcnt(1)
	v_sub_u32_e32 v44, v44, v53
	v_mul_lo_u32 v2, s27, v1
	v_sub_u32_e32 v0, v0, v2
	v_cmp_le_u32_e64 s[28:29], s27, v0
	v_addc_co_u32_e64 v0, s[28:29], 0, v1, s[28:29]
	v_sub_u32_e32 v1, 0, v0
	v_cndmask_b32_e32 v0, v0, v1, vcc
	v_lshrrev_b32_e32 v1, 8, v52
	s_waitcnt vmcnt(0)
	v_and_b32_e32 v2, 0x8000, v4
	v_cmp_ne_u32_e32 vcc, 0, v2
	s_and_b64 vcc, s[88:89], vcc
	v_sub_u16_e32 v2, 0, v1
	v_cndmask_b32_e32 v1, v1, v2, vcc
	v_and_b32_e32 v1, 0xff, v1
	v_mul_hi_u32 v2, v1, s92
	v_mul_lo_u32 v3, s27, v2
	v_sub_u32_e32 v1, v1, v3
	v_cmp_le_u32_e64 s[28:29], s27, v1
	v_addc_co_u32_e64 v1, s[28:29], 0, v2, s[28:29]
	v_sub_u32_e32 v2, 0, v1
	v_cndmask_b32_e32 v1, v1, v2, vcc
	v_lshlrev_b32_e32 v6, 8, v1
	v_lshrrev_b32_e32 v1, 16, v23
	v_cmp_lt_i16_sdwa s[28:29], sext(v1), v51 src0_sel:BYTE_0 src1_sel:DWORD
	s_and_b64 vcc, s[88:89], s[28:29]
	v_sub_u16_e32 v2, 0, v1
	v_cndmask_b32_e32 v1, v1, v2, vcc
	v_and_b32_e32 v1, 0xff, v1
	v_mul_hi_u32 v2, v1, s92
	v_perm_b32 v0, v6, v0, s99
	v_mul_lo_u32 v3, s27, v2
	v_sub_u32_e32 v1, v1, v3
	v_cmp_le_u32_e64 s[28:29], s27, v1
	v_addc_co_u32_e64 v1, s[28:29], 0, v2, s[28:29]
	v_sub_u32_e32 v2, 0, v1
	v_cndmask_b32_e32 v1, v1, v2, vcc
	v_and_b32_e32 v23, 0xff, v1
	v_lshrrev_b32_e32 v1, 24, v52
	v_and_b32_e32 v2, s30, v4
	v_cmp_lt_i32_e32 vcc, -1, v2
	v_sub_u16_e32 v2, 0, v1
	v_cndmask_b32_e32 v1, v2, v1, vcc
	v_and_b32_e32 v2, 0xff, v1
	v_mul_hi_u32 v1, v2, s92
	v_mul_lo_u32 v3, s27, v1
	v_sub_u32_e32 v3, v2, v3
	v_cmp_le_u32_e64 s[28:29], s27, v3
	v_addc_co_u32_e64 v1, s[28:29], 0, v1, s[28:29]
	v_sub_u32_e32 v2, 0, v1
	v_cndmask_b32_e32 v1, v2, v1, vcc
	v_add_co_u32_e32 v60, vcc, v60, v7
	v_addc_co_u32_e32 v61, vcc, 0, v61, vcc
	v_add_co_u32_e32 v28, vcc, v28, v7
	v_lshlrev_b32_e32 v2, 16, v23
	v_lshlrev_b32_e32 v1, 24, v1
	v_addc_co_u32_e32 v29, vcc, 0, v29, vcc
	v_or3_b32 v23, v1, v2, v0
	global_store_dwordx4 v[30:31], v[8:11], off glc slc
	global_store_dwordx4 v[30:31], v[12:15], off offset:1024 glc slc
	global_store_dwordx4 v[30:31], v[16:19], off offset:2048 glc slc
	;; [unrolled: 1-line block ×3, first 2 shown]
	v_add_co_u32_e32 v30, vcc, v30, v7
	v_addc_co_u32_e32 v31, vcc, 0, v31, vcc
	v_cmp_gt_i32_e32 vcc, 1, v44
	s_or_b64 s[90:91], vcc, s[90:91]
	s_andn2_b64 exec, exec, s[90:91]
	s_cbranch_execnz .LBB6_606
; %bb.607:                              ;   in Loop: Header=BB6_491 Depth=2
	s_or_b64 exec, exec, s[90:91]
	buffer_load_dword v48, off, s[0:3], s33 offset:260 ; 4-byte Folded Reload
	buffer_load_dword v49, off, s[0:3], s33 offset:264 ; 4-byte Folded Reload
	;; [unrolled: 1-line block ×34, first 2 shown]
	v_mov_b32_e32 v54, 1
	v_mov_b32_e32 v26, 0xc8
	;; [unrolled: 1-line block ×3, first 2 shown]
.LBB6_608:                              ;   in Loop: Header=BB6_491 Depth=2
	s_or_b64 exec, exec, s[40:41]
	s_waitcnt vmcnt(0)
	v_lshlrev_b32_e32 v0, 12, v1
	v_cmp_ne_u32_e32 vcc, v47, v0
                                        ; implicit-def: $vgpr4
                                        ; implicit-def: $vgpr3
                                        ; implicit-def: $vgpr5
	s_and_saveexec_b64 s[88:89], vcc
	s_cbranch_execz .LBB6_614
; %bb.609:                              ;   in Loop: Header=BB6_491 Depth=2
	buffer_load_dword v3, off, s[0:3], s33 offset:340 ; 4-byte Folded Reload
	v_lshlrev_b32_e32 v1, 6, v44
	v_sub_u32_e32 v2, v47, v0
	v_mov_b32_e32 v31, v16
	v_mov_b32_e32 v30, v15
	;; [unrolled: 1-line block ×4, first 2 shown]
	s_waitcnt vmcnt(0)
	v_sub_u32_e32 v1, v3, v1
	v_ashrrev_i32_e32 v3, 31, v1
	v_lshrrev_b32_e32 v3, 26, v3
	v_add_u32_e32 v3, v1, v3
	v_ashrrev_i32_e32 v4, 6, v3
	v_and_b32_e32 v3, 0xffffffc0, v3
	v_sub_u32_e32 v5, v1, v3
	v_ashrrev_i32_e32 v3, 31, v2
	v_lshrrev_b32_e32 v3, 22, v3
	v_add_u32_e32 v3, v2, v3
	v_and_b32_e32 v7, 0xfffffc00, v3
	v_lshlrev_b32_e32 v1, 4, v5
	v_sub_u32_e32 v16, v2, v7
	v_lshl_add_u32 v1, v4, 10, v1
	v_ashrrev_i32_e32 v6, 10, v3
	v_cmp_lt_i32_e32 vcc, 15, v16
	v_sub_u32_e32 v18, v2, v1
	v_addc_co_u32_e64 v2, s[28:29], 0, v6, vcc
	v_sub_u32_e32 v17, v2, v4
	v_cmp_lt_i32_e64 s[28:29], 15, v18
	s_and_saveexec_b64 s[90:91], s[28:29]
	s_cbranch_execz .LBB6_613
; %bb.610:                              ;   in Loop: Header=BB6_491 Depth=2
	v_cvt_f32_u32_e32 v2, s27
	v_add_u32_e32 v6, v1, v0
	s_sub_i32 s28, 0, s27
	s_trap 2
	v_rcp_iflag_f32_e32 v2, v2
	v_ashrrev_i32_e32 v8, 31, v6
	v_mov_b32_e32 v44, v14
	v_mov_b32_e32 v61, v29
	v_mul_f32_e32 v1, 0x4f7ffffe, v2
	v_cvt_u32_f32_e32 v3, v1
	ds_read_b64 v[1:2], v0
	v_mov_b32_e32 v60, v28
	s_mov_b64 s[94:95], 0
	v_readfirstlane_b32 s29, v3
	s_mul_i32 s28, s28, s29
	s_mul_hi_u32 s28, s29, s28
	s_add_i32 s29, s29, s28
	s_mul_hi_u32 s28, s29, -1
	s_mul_i32 s29, s28, s27
	s_not_b32 s29, s29
	s_add_i32 s40, s28, 1
	s_sub_i32 s41, s29, s27
	s_cmp_ge_u32 s29, s27
	s_cselect_b32 s28, s40, s28
	s_cselect_b32 s29, s41, s29
	s_add_i32 s40, s28, 1
	s_cmp_ge_u32 s29, s27
	s_cselect_b32 s31, s40, s28
	v_add_co_u32_e64 v3, s[28:29], v6, v28
	v_addc_co_u32_e64 v4, s[28:29], v8, v29, s[28:29]
	s_waitcnt lgkmcnt(0)
	v_add_co_u32_e64 v12, s[28:29], v1, v6
	v_addc_co_u32_e64 v13, s[28:29], v2, v8, s[28:29]
	v_mov_b32_e32 v1, v58
	v_mov_b32_e32 v2, v59
	v_add_co_u32_e64 v14, s[28:29], v6, v1
	s_cmp_lt_i32 s30, 0
	v_addc_co_u32_e64 v15, s[28:29], v8, v2, s[28:29]
	s_cselect_b64 s[92:93], -1, 0
.LBB6_611:                              ;   Parent Loop BB6_47 Depth=1
                                        ;     Parent Loop BB6_491 Depth=2
                                        ; =>    This Inner Loop Header: Depth=3
	global_load_dwordx4 v[19:22], v[3:4], off glc slc
	global_load_dwordx4 v[8:11], v[12:13], off glc slc
	v_sub_u32_e32 v18, v18, v32
	v_sub_u32_e32 v17, v17, v53
	s_waitcnt vmcnt(0)
	v_and_b32_e32 v1, 0xff00ff, v8
	v_and_b32_e32 v23, 0xff00ff, v11
	;; [unrolled: 1-line block ×5, first 2 shown]
	v_add_u32_e32 v25, v1, v11
	v_and_b32_e32 v1, 0xff00ff00, v19
	v_and_b32_e32 v6, 0xff00ff, v9
	v_add_u32_e32 v26, v2, v1
	v_and_b32_e32 v1, 0xff00ff, v20
	v_and_b32_e32 v8, 0xff00ff00, v9
	v_add_u32_e32 v28, v6, v1
	v_and_b32_e32 v1, 0xff00ff00, v20
	v_cmp_lt_i16_sdwa s[28:29], sext(v25), v51 src0_sel:BYTE_0 src1_sel:DWORD
	v_add_u32_e32 v20, v8, v1
	s_and_b64 s[28:29], s[92:93], s[28:29]
	v_sub_u16_e32 v8, 0, v25
	v_cndmask_b32_e64 v8, v25, v8, s[28:29]
	v_and_b32_e32 v9, 0xff00ff, v10
	v_and_b32_e32 v1, 0xff00ff, v21
	;; [unrolled: 1-line block ×3, first 2 shown]
	v_add_u32_e32 v19, v9, v1
	v_mul_hi_u32 v9, v8, s31
	v_and_b32_e32 v1, 0xff00ff00, v21
	v_perm_b32 v27, v26, v25, s64
	v_and_b32_e32 v10, 0xff00ff00, v10
	v_mul_lo_u32 v21, s27, v9
	v_add_u32_e32 v10, v10, v1
	v_and_b32_e32 v1, 0xff00ff, v22
	v_add_u32_e32 v6, v23, v1
	v_sub_u32_e32 v8, v8, v21
	v_cmp_le_u32_e64 s[40:41], s27, v8
	v_addc_co_u32_e64 v8, s[40:41], 0, v9, s[40:41]
	v_sub_u32_e32 v9, 0, v8
	v_and_b32_e32 v21, 0x8000, v27
	v_cndmask_b32_e64 v8, v8, v9, s[28:29]
	v_lshrrev_b32_e32 v9, 8, v26
	v_cmp_ne_u32_e64 s[28:29], 0, v21
	s_and_b64 s[28:29], s[92:93], s[28:29]
	v_sub_u16_e32 v21, 0, v9
	v_cndmask_b32_e64 v9, v9, v21, s[28:29]
	v_and_b32_e32 v9, 0xff, v9
	v_mul_hi_u32 v21, v9, s31
	v_and_b32_e32 v1, 0xff00ff00, v22
	v_add_u32_e32 v1, v24, v1
	v_perm_b32 v29, v20, v28, s64
	v_mul_lo_u32 v22, s27, v21
	v_perm_b32 v11, v10, v19, s64
	v_perm_b32 v2, v1, v6, s64
	v_sub_u32_e32 v9, v9, v22
	v_cmp_le_u32_e64 s[40:41], s27, v9
	v_addc_co_u32_e64 v9, s[40:41], 0, v21, s[40:41]
	v_sub_u32_e32 v21, 0, v9
	v_cndmask_b32_e64 v9, v9, v21, s[28:29]
	v_lshrrev_b32_e32 v21, 16, v25
	v_cmp_lt_i16_sdwa s[28:29], sext(v21), v51 src0_sel:BYTE_0 src1_sel:DWORD
	s_and_b64 s[28:29], s[92:93], s[28:29]
	v_sub_u16_e32 v22, 0, v21
	v_cndmask_b32_e64 v21, v21, v22, s[28:29]
	v_and_b32_e32 v21, 0xff, v21
	v_mul_hi_u32 v22, v21, s31
	v_lshlrev_b32_e32 v9, 8, v9
	v_perm_b32 v8, v9, v8, s99
	v_sub_u16_e32 v9, 0, v28
	v_mul_lo_u32 v23, s27, v22
	v_sub_u32_e32 v21, v21, v23
	v_cmp_le_u32_e64 s[40:41], s27, v21
	v_addc_co_u32_e64 v21, s[40:41], 0, v22, s[40:41]
	v_sub_u32_e32 v22, 0, v21
	v_cndmask_b32_e64 v21, v21, v22, s[28:29]
	v_lshrrev_b32_e32 v22, 24, v26
	v_and_b32_e32 v23, s30, v27
	v_cmp_lt_i32_e64 s[28:29], -1, v23
	v_sub_u16_e32 v23, 0, v22
	v_cndmask_b32_e64 v22, v23, v22, s[28:29]
	v_and_b32_e32 v22, 0xff, v22
	v_mul_hi_u32 v23, v22, s31
	v_and_b32_e32 v21, 0xff, v21
	v_lshlrev_b32_e32 v21, 16, v21
	v_mul_lo_u32 v24, s27, v23
	v_sub_u32_e32 v22, v22, v24
	v_cmp_le_u32_e64 s[40:41], s27, v22
	v_addc_co_u32_e64 v22, s[40:41], 0, v23, s[40:41]
	v_sub_u32_e32 v23, 0, v22
	v_cndmask_b32_e64 v22, v23, v22, s[28:29]
	v_cmp_lt_i16_sdwa s[28:29], sext(v28), v51 src0_sel:BYTE_0 src1_sel:DWORD
	s_and_b64 s[28:29], s[92:93], s[28:29]
	v_cndmask_b32_e64 v9, v28, v9, s[28:29]
	v_lshlrev_b32_e32 v22, 24, v22
	v_and_b32_e32 v9, 0xff, v9
	v_or3_b32 v8, v22, v21, v8
	v_mul_hi_u32 v21, v9, s31
	v_mul_lo_u32 v22, s27, v21
	v_sub_u32_e32 v9, v9, v22
	v_cmp_le_u32_e64 s[40:41], s27, v9
	v_addc_co_u32_e64 v9, s[40:41], 0, v21, s[40:41]
	v_sub_u32_e32 v21, 0, v9
	v_and_b32_e32 v22, 0x8000, v29
	v_cndmask_b32_e64 v9, v9, v21, s[28:29]
	v_lshrrev_b32_e32 v21, 8, v20
	v_cmp_ne_u32_e64 s[28:29], 0, v22
	s_and_b64 s[28:29], s[92:93], s[28:29]
	v_sub_u16_e32 v22, 0, v21
	v_cndmask_b32_e64 v21, v21, v22, s[28:29]
	v_and_b32_e32 v21, 0xff, v21
	v_mul_hi_u32 v22, v21, s31
	v_lshrrev_b32_e32 v20, 24, v20
	v_mul_lo_u32 v23, s27, v22
	v_sub_u32_e32 v21, v21, v23
	v_cmp_le_u32_e64 s[40:41], s27, v21
	v_addc_co_u32_e64 v21, s[40:41], 0, v22, s[40:41]
	v_sub_u32_e32 v22, 0, v21
	v_cndmask_b32_e64 v21, v21, v22, s[28:29]
	v_lshrrev_b32_e32 v22, 16, v28
	v_cmp_lt_i16_sdwa s[28:29], sext(v22), v51 src0_sel:BYTE_0 src1_sel:DWORD
	s_and_b64 s[28:29], s[92:93], s[28:29]
	v_sub_u16_e32 v23, 0, v22
	v_cndmask_b32_e64 v22, v22, v23, s[28:29]
	v_and_b32_e32 v22, 0xff, v22
	v_mul_hi_u32 v23, v22, s31
	v_lshlrev_b32_e32 v21, 8, v21
	v_perm_b32 v9, v21, v9, s99
	v_mul_lo_u32 v24, s27, v23
	v_sub_u32_e32 v22, v22, v24
	v_cmp_le_u32_e64 s[40:41], s27, v22
	v_addc_co_u32_e64 v22, s[40:41], 0, v23, s[40:41]
	v_sub_u32_e32 v23, 0, v22
	v_cndmask_b32_e64 v22, v22, v23, s[28:29]
	v_and_b32_e32 v23, s30, v29
	v_cmp_lt_i32_e64 s[28:29], -1, v23
	v_sub_u16_e32 v23, 0, v20
	v_cndmask_b32_e64 v20, v23, v20, s[28:29]
	v_and_b32_e32 v20, 0xff, v20
	v_mul_hi_u32 v23, v20, s31
	v_and_b32_e32 v22, 0xff, v22
	v_lshlrev_b32_e32 v22, 16, v22
	v_mul_lo_u32 v24, s27, v23
	v_sub_u32_e32 v20, v20, v24
	v_cmp_le_u32_e64 s[40:41], s27, v20
	v_addc_co_u32_e64 v20, s[40:41], 0, v23, s[40:41]
	v_sub_u32_e32 v23, 0, v20
	v_cndmask_b32_e64 v20, v23, v20, s[28:29]
	v_lshlrev_b32_e32 v20, 24, v20
	v_cmp_lt_i16_sdwa s[28:29], sext(v19), v51 src0_sel:BYTE_0 src1_sel:DWORD
	v_or3_b32 v9, v20, v22, v9
	s_and_b64 s[28:29], s[92:93], s[28:29]
	v_sub_u16_e32 v20, 0, v19
	v_cndmask_b32_e64 v20, v19, v20, s[28:29]
	v_and_b32_e32 v20, 0xff, v20
	v_mul_hi_u32 v21, v20, s31
	v_lshrrev_b32_e32 v19, 16, v19
	v_mul_lo_u32 v22, s27, v21
	v_sub_u32_e32 v20, v20, v22
	v_cmp_le_u32_e64 s[40:41], s27, v20
	v_addc_co_u32_e64 v20, s[40:41], 0, v21, s[40:41]
	v_sub_u32_e32 v21, 0, v20
	v_and_b32_e32 v22, 0x8000, v11
	v_cndmask_b32_e64 v20, v20, v21, s[28:29]
	v_lshrrev_b32_e32 v21, 8, v10
	v_cmp_ne_u32_e64 s[28:29], 0, v22
	s_and_b64 s[28:29], s[92:93], s[28:29]
	v_sub_u16_e32 v22, 0, v21
	v_cndmask_b32_e64 v21, v21, v22, s[28:29]
	v_and_b32_e32 v21, 0xff, v21
	v_mul_hi_u32 v22, v21, s31
	v_lshrrev_b32_e32 v10, 24, v10
	v_and_b32_e32 v11, s30, v11
	v_mul_lo_u32 v23, s27, v22
	v_sub_u32_e32 v21, v21, v23
	v_cmp_le_u32_e64 s[40:41], s27, v21
	v_addc_co_u32_e64 v21, s[40:41], 0, v22, s[40:41]
	v_sub_u32_e32 v22, 0, v21
	v_cndmask_b32_e64 v21, v21, v22, s[28:29]
	v_cmp_lt_i16_sdwa s[28:29], sext(v19), v51 src0_sel:BYTE_0 src1_sel:DWORD
	s_and_b64 s[28:29], s[92:93], s[28:29]
	v_sub_u16_e32 v22, 0, v19
	v_cndmask_b32_e64 v19, v19, v22, s[28:29]
	v_and_b32_e32 v19, 0xff, v19
	v_mul_hi_u32 v22, v19, s31
	v_lshlrev_b32_e32 v21, 8, v21
	v_mul_lo_u32 v23, s27, v22
	v_sub_u32_e32 v19, v19, v23
	v_cmp_le_u32_e64 s[40:41], s27, v19
	v_addc_co_u32_e64 v19, s[40:41], 0, v22, s[40:41]
	v_sub_u32_e32 v22, 0, v19
	v_cndmask_b32_e64 v19, v19, v22, s[28:29]
	v_cmp_lt_i32_e64 s[28:29], -1, v11
	v_sub_u16_e32 v11, 0, v10
	v_cndmask_b32_e64 v10, v11, v10, s[28:29]
	v_and_b32_e32 v10, 0xff, v10
	v_mul_hi_u32 v11, v10, s31
	v_and_b32_e32 v19, 0xff, v19
	v_mul_lo_u32 v22, s27, v11
	v_sub_u32_e32 v10, v10, v22
	v_cmp_le_u32_e64 s[40:41], s27, v10
	v_addc_co_u32_e64 v10, s[40:41], 0, v11, s[40:41]
	v_sub_u32_e32 v11, 0, v10
	v_cndmask_b32_e64 v10, v11, v10, s[28:29]
	v_lshlrev_b32_e32 v11, 16, v19
	v_lshlrev_b32_e32 v10, 24, v10
	v_perm_b32 v19, v21, v20, s99
	v_cmp_lt_i16_sdwa s[28:29], sext(v6), v51 src0_sel:BYTE_0 src1_sel:DWORD
	v_or3_b32 v10, v10, v11, v19
	s_and_b64 s[28:29], s[92:93], s[28:29]
	v_sub_u16_e32 v11, 0, v6
	v_cndmask_b32_e64 v11, v6, v11, s[28:29]
	v_and_b32_e32 v11, 0xff, v11
	v_mul_hi_u32 v19, v11, s31
	v_lshrrev_b32_e32 v6, 16, v6
	v_mul_lo_u32 v20, s27, v19
	v_sub_u32_e32 v11, v11, v20
	v_cmp_le_u32_e64 s[40:41], s27, v11
	v_addc_co_u32_e64 v11, s[40:41], 0, v19, s[40:41]
	v_sub_u32_e32 v19, 0, v11
	v_and_b32_e32 v20, 0x8000, v2
	v_cndmask_b32_e64 v11, v11, v19, s[28:29]
	v_lshrrev_b32_e32 v19, 8, v1
	v_cmp_ne_u32_e64 s[28:29], 0, v20
	s_and_b64 s[28:29], s[92:93], s[28:29]
	v_sub_u16_e32 v20, 0, v19
	v_cndmask_b32_e64 v19, v19, v20, s[28:29]
	v_and_b32_e32 v19, 0xff, v19
	v_mul_hi_u32 v20, v19, s31
	v_lshrrev_b32_e32 v1, 24, v1
	v_and_b32_e32 v2, s30, v2
	v_mul_lo_u32 v21, s27, v20
	v_sub_u32_e32 v19, v19, v21
	v_cmp_le_u32_e64 s[40:41], s27, v19
	v_addc_co_u32_e64 v19, s[40:41], 0, v20, s[40:41]
	v_sub_u32_e32 v20, 0, v19
	v_cndmask_b32_e64 v19, v19, v20, s[28:29]
	v_cmp_lt_i16_sdwa s[28:29], sext(v6), v51 src0_sel:BYTE_0 src1_sel:DWORD
	s_and_b64 s[28:29], s[92:93], s[28:29]
	v_sub_u16_e32 v20, 0, v6
	v_cndmask_b32_e64 v6, v6, v20, s[28:29]
	v_and_b32_e32 v6, 0xff, v6
	v_mul_hi_u32 v20, v6, s31
	v_lshlrev_b32_e32 v19, 8, v19
	v_mul_lo_u32 v21, s27, v20
	v_sub_u32_e32 v6, v6, v21
	v_cmp_le_u32_e64 s[40:41], s27, v6
	v_addc_co_u32_e64 v6, s[40:41], 0, v20, s[40:41]
	v_sub_u32_e32 v20, 0, v6
	v_cndmask_b32_e64 v6, v6, v20, s[28:29]
	v_cmp_lt_i32_e64 s[28:29], -1, v2
	v_sub_u16_e32 v2, 0, v1
	v_cndmask_b32_e64 v1, v2, v1, s[28:29]
	v_and_b32_e32 v1, 0xff, v1
	v_mul_hi_u32 v2, v1, s31
	v_and_b32_e32 v6, 0xff, v6
	v_mul_lo_u32 v20, s27, v2
	v_sub_u32_e32 v1, v1, v20
	v_cmp_le_u32_e64 s[40:41], s27, v1
	v_addc_co_u32_e64 v1, s[40:41], 0, v2, s[40:41]
	v_sub_u32_e32 v2, 0, v1
	v_cndmask_b32_e64 v1, v2, v1, s[28:29]
	v_add_co_u32_e64 v3, s[28:29], v3, v32
	v_addc_co_u32_e64 v4, s[28:29], 0, v4, s[28:29]
	v_lshlrev_b32_e32 v2, 16, v6
	v_lshlrev_b32_e32 v1, 24, v1
	v_perm_b32 v6, v19, v11, s99
	v_add_co_u32_e64 v12, s[28:29], v12, v32
	v_or3_b32 v11, v1, v2, v6
	v_addc_co_u32_e64 v13, s[28:29], 0, v13, s[28:29]
	global_store_dwordx4 v[14:15], v[8:11], off glc slc
	v_add_co_u32_e64 v14, s[28:29], v14, v32
	v_addc_co_u32_e64 v15, s[28:29], 0, v15, s[28:29]
	v_cmp_gt_i32_e64 s[28:29], 16, v18
	s_or_b64 s[94:95], s[28:29], s[94:95]
	s_andn2_b64 exec, exec, s[94:95]
	s_cbranch_execnz .LBB6_611
; %bb.612:                              ;   in Loop: Header=BB6_491 Depth=2
	s_or_b64 exec, exec, s[94:95]
	buffer_load_dword v20, off, s[0:3], s33 offset:252 ; 4-byte Folded Reload
	buffer_load_dword v21, off, s[0:3], s33 offset:256 ; 4-byte Folded Reload
	buffer_load_dword v27, off, s[0:3], s33 offset:188 ; 4-byte Folded Reload
	buffer_load_dword v25, off, s[0:3], s33 offset:184 ; 4-byte Folded Reload
	buffer_load_dword v22, off, s[0:3], s33 offset:168 ; 4-byte Folded Reload
	buffer_load_dword v23, off, s[0:3], s33 offset:172 ; 4-byte Folded Reload
	v_mov_b32_e32 v28, v60
	v_mov_b32_e32 v26, 0xc8
	;; [unrolled: 1-line block ×5, first 2 shown]
.LBB6_613:                              ;   in Loop: Header=BB6_491 Depth=2
	s_or_b64 exec, exec, s[90:91]
	v_and_b32_e32 v1, 15, v47
	v_sub_u32_e32 v2, v16, v1
	v_cndmask_b32_e32 v2, 0, v2, vcc
	v_cndmask_b32_e32 v4, v16, v1, vcc
	v_cmp_lt_i32_e32 vcc, 0, v17
	v_add3_u32 v3, v7, v0, v2
	v_cndmask_b32_e32 v0, 0, v53, vcc
	v_cmp_ne_u32_e32 vcc, 0, v4
	v_sub_u32_e32 v0, v0, v17
	s_andn2_b64 s[28:29], s[42:43], exec
	s_and_b64 s[40:41], vcc, exec
	v_mov_b32_e32 v15, v30
	v_mov_b32_e32 v17, v58
	v_lshl_add_u32 v5, v0, 6, v5
	s_or_b64 s[42:43], s[28:29], s[40:41]
	v_mov_b32_e32 v16, v31
	v_mov_b32_e32 v18, v59
.LBB6_614:                              ;   in Loop: Header=BB6_491 Depth=2
	s_or_b64 exec, exec, s[88:89]
	s_and_saveexec_b64 s[40:41], s[42:43]
	s_cbranch_execnz .LBB6_618
	s_branch .LBB6_626
.LBB6_615:                              ;   in Loop: Header=BB6_491 Depth=2
	v_cmp_lt_i32_e64 s[28:29], 0, v47
	s_and_saveexec_b64 s[40:41], s[10:11]
	s_cbranch_execnz .LBB6_627
	s_branch .LBB6_580
.LBB6_616:                              ;   in Loop: Header=BB6_491 Depth=2
	s_mov_b64 s[42:43], 0
                                        ; implicit-def: $sgpr30
                                        ; implicit-def: $sgpr27
	s_andn2_b64 vcc, exec, s[40:41]
	s_waitcnt vmcnt(0)
	v_mov_b32_e32 v3, 0
	s_cbranch_vccz .LBB6_604
.LBB6_617:                              ;   in Loop: Header=BB6_491 Depth=2
	buffer_load_dword v5, off, s[0:3], s33 offset:148 ; 4-byte Folded Reload
	v_mov_b32_e32 v4, v47
	s_and_saveexec_b64 s[40:41], s[42:43]
	s_cbranch_execz .LBB6_626
.LBB6_618:                              ;   in Loop: Header=BB6_491 Depth=2
	s_waitcnt vmcnt(0)
	v_ashrrev_i32_e32 v0, 31, v5
	v_ashrrev_i32_e32 v1, 31, v4
	v_lshrrev_b32_e32 v0, 26, v0
	v_lshrrev_b32_e32 v1, 21, v1
	v_add_u32_e32 v0, v5, v0
	v_add_u32_e32 v1, v4, v1
	v_ashrrev_i32_e32 v2, 6, v0
	v_ashrrev_i32_e32 v1, 11, v1
	v_sub_u32_e32 v7, v1, v2
	v_cmp_lt_i32_e32 vcc, 0, v7
	s_and_saveexec_b64 s[42:43], vcc
	s_cbranch_execz .LBB6_622
; %bb.619:                              ;   in Loop: Header=BB6_491 Depth=2
	buffer_store_dword v1, off, s[0:3], s33 offset:380 ; 4-byte Folded Spill
	buffer_store_dword v4, off, s[0:3], s33 offset:364 ; 4-byte Folded Spill
	;; [unrolled: 1-line block ×5, first 2 shown]
	s_nop 0
	buffer_store_dword v47, off, s[0:3], s33 offset:320 ; 4-byte Folded Spill
	buffer_store_dword v15, off, s[0:3], s33 offset:136 ; 4-byte Folded Spill
	s_nop 0
	buffer_store_dword v16, off, s[0:3], s33 offset:140 ; 4-byte Folded Spill
	buffer_store_dword v37, off, s[0:3], s33 offset:220 ; 4-byte Folded Spill
	s_nop 0
	buffer_store_dword v38, off, s[0:3], s33 offset:224 ; 4-byte Folded Spill
	buffer_store_dword v56, off, s[0:3], s33 offset:212 ; 4-byte Folded Spill
	s_nop 0
	buffer_store_dword v57, off, s[0:3], s33 offset:216 ; 4-byte Folded Spill
	v_cvt_f32_u32_e32 v1, s27
	s_sub_i32 s28, 0, s27
	v_and_b32_e32 v0, 0xffffffc0, v0
	buffer_store_dword v2, off, s[0:3], s33 offset:376 ; 4-byte Folded Spill
	v_rcp_iflag_f32_e32 v1, v1
	v_lshlrev_b32_e32 v2, 11, v2
	v_sub_u32_e32 v0, v5, v0
	s_trap 2
	v_mul_f32_e32 v1, 0x4f7ffffe, v1
	v_cvt_u32_f32_e32 v1, v1
	v_add3_u32 v2, v3, v0, v2
	v_ashrrev_i32_e32 v6, 31, v2
	v_add_co_u32_e32 v50, vcc, v2, v28
	v_readfirstlane_b32 s29, v1
	s_mul_i32 s28, s28, s29
	s_mul_hi_u32 s28, s29, s28
	s_add_i32 s29, s29, s28
	ds_read_b64 v[0:1], v0
	s_mul_hi_u32 s28, s29, -1
	s_mul_i32 s29, s28, s27
	s_not_b32 s29, s29
	s_add_i32 s88, s28, 1
	s_sub_i32 s89, s29, s27
	v_mov_b32_e32 v44, v51
	v_addc_co_u32_e32 v51, vcc, v6, v29, vcc
	s_cmp_ge_u32 s29, s27
	s_waitcnt lgkmcnt(0)
	v_add_co_u32_e32 v8, vcc, v0, v2
	s_cselect_b32 s28, s88, s28
	v_addc_co_u32_e32 v9, vcc, v1, v6, vcc
	s_cselect_b32 s29, s89, s29
	s_add_i32 s88, s28, 1
	v_add_co_u32_e32 v0, vcc, 0x7c0, v17
	s_cmp_ge_u32 s29, s27
	v_addc_co_u32_e32 v1, vcc, 0, v18, vcc
	s_cselect_b32 s92, s88, s28
	s_cmp_lt_i32 s30, 0
	v_add_co_u32_e32 v10, vcc, v0, v2
	s_cselect_b64 s[88:89], -1, 0
	v_addc_co_u32_e32 v11, vcc, v1, v6, vcc
	s_mov_b64 s[90:91], 0
	buffer_store_dword v5, off, s[0:3], s33 offset:372 ; 4-byte Folded Spill
	buffer_store_dword v3, off, s[0:3], s33 offset:332 ; 4-byte Folded Spill
.LBB6_620:                              ;   Parent Loop BB6_47 Depth=1
                                        ;     Parent Loop BB6_491 Depth=2
                                        ; =>    This Inner Loop Header: Depth=3
	buffer_store_dword v7, off, s[0:3], s33 offset:60 ; 4-byte Folded Spill
	flat_load_ubyte v54, v[50:51] glc slc
	flat_load_ubyte v56, v[50:51] offset:64 glc slc
	flat_load_ubyte v57, v[50:51] offset:128 glc slc
	;; [unrolled: 1-line block ×18, first 2 shown]
	s_waitcnt vmcnt(0) lgkmcnt(0)
	buffer_store_dword v0, off, s[0:3], s33 offset:68 ; 4-byte Folded Spill
	flat_load_ubyte v0, v[50:51] offset:1216 glc slc
	s_waitcnt vmcnt(0) lgkmcnt(0)
	buffer_store_dword v0, off, s[0:3], s33 offset:76 ; 4-byte Folded Spill
	flat_load_ubyte v0, v[50:51] offset:1280 glc slc
	;; [unrolled: 3-line block ×10, first 2 shown]
	s_nop 0
	flat_load_ubyte v0, v[50:51] offset:1856 glc slc
	s_waitcnt vmcnt(0) lgkmcnt(0)
	buffer_store_dword v0, off, s[0:3], s33 offset:244 ; 4-byte Folded Spill
	flat_load_ubyte v0, v[50:51] offset:1920 glc slc
	s_waitcnt vmcnt(0) lgkmcnt(0)
	buffer_store_dword v0, off, s[0:3], s33 offset:276 ; 4-byte Folded Spill
	;; [unrolled: 3-line block ×3, first 2 shown]
	flat_load_ubyte v2, v[8:9] glc slc
	flat_load_ubyte v52, v[8:9] offset:64 glc slc
	flat_load_ubyte v53, v[8:9] offset:128 glc slc
	;; [unrolled: 1-line block ×31, first 2 shown]
	s_waitcnt vmcnt(0) lgkmcnt(0)
	v_add_u16_e32 v61, v2, v54
	v_add_u16_e32 v54, v52, v56
	;; [unrolled: 1-line block ×16, first 2 shown]
	buffer_load_dword v0, off, s[0:3], s33 offset:68 ; 4-byte Folded Reload
	v_add_u16_e32 v28, v1, v28
	buffer_load_dword v1, off, s[0:3], s33 offset:296 ; 4-byte Folded Reload
	v_add_u16_e32 v27, v6, v4
	v_cmp_lt_i16_sdwa s[28:29], sext(v61), v44 src0_sel:BYTE_0 src1_sel:DWORD
	s_and_b64 vcc, s[88:89], s[28:29]
	v_add_u16_e32 v17, v37, v39
	s_waitcnt vmcnt(1)
	v_add_u16_e32 v26, v7, v0
	buffer_load_dword v0, off, s[0:3], s33 offset:76 ; 4-byte Folded Reload
	s_waitcnt vmcnt(1)
	v_add_u16_e32 v1, v49, v1
	s_waitcnt vmcnt(0)
	v_add_u16_e32 v25, v3, v0
	buffer_load_dword v0, off, s[0:3], s33 offset:84 ; 4-byte Folded Reload
	v_sub_u16_e32 v3, 0, v61
	v_cndmask_b32_e32 v3, v61, v3, vcc
	v_and_b32_e32 v3, 0xff, v3
	v_mul_hi_u32 v4, v3, s92
	v_mul_lo_u32 v5, s27, v4
	v_sub_u32_e32 v3, v3, v5
	v_cmp_le_u32_e64 s[28:29], s27, v3
	v_addc_co_u32_e64 v3, s[28:29], 0, v4, s[28:29]
	v_sub_u32_e32 v4, 0, v3
	v_cmp_lt_i16_sdwa s[28:29], sext(v54), v44 src0_sel:BYTE_0 src1_sel:DWORD
	v_cndmask_b32_e32 v7, v3, v4, vcc
	s_and_b64 vcc, s[88:89], s[28:29]
	v_sub_u16_e32 v3, 0, v54
	v_cndmask_b32_e32 v3, v54, v3, vcc
	v_and_b32_e32 v3, 0xff, v3
	v_mul_hi_u32 v4, v3, s92
	v_mul_lo_u32 v5, s27, v4
	v_sub_u32_e32 v3, v3, v5
	v_cmp_le_u32_e64 s[28:29], s27, v3
	v_addc_co_u32_e64 v3, s[28:29], 0, v4, s[28:29]
	v_sub_u32_e32 v4, 0, v3
	v_cmp_lt_i16_sdwa s[28:29], sext(v60), v44 src0_sel:BYTE_0 src1_sel:DWORD
	v_cndmask_b32_e32 v54, v3, v4, vcc
	s_and_b64 vcc, s[88:89], s[28:29]
	v_sub_u16_e32 v3, 0, v60
	v_cndmask_b32_e32 v3, v60, v3, vcc
	v_and_b32_e32 v3, 0xff, v3
	v_mul_hi_u32 v4, v3, s92
	v_mul_lo_u32 v5, s27, v4
	v_sub_u32_e32 v3, v3, v5
	v_cmp_le_u32_e64 s[28:29], s27, v3
	v_addc_co_u32_e64 v3, s[28:29], 0, v4, s[28:29]
	v_sub_u32_e32 v4, 0, v3
	v_cmp_lt_i16_sdwa s[28:29], sext(v59), v44 src0_sel:BYTE_0 src1_sel:DWORD
	s_waitcnt vmcnt(0)
	v_add_u16_e32 v6, v29, v0
	buffer_load_dword v0, off, s[0:3], s33 offset:88 ; 4-byte Folded Reload
	s_waitcnt vmcnt(0)
	v_add_u16_e32 v24, v30, v0
	buffer_load_dword v0, off, s[0:3], s33 offset:92 ; 4-byte Folded Reload
	;; [unrolled: 3-line block ×7, first 2 shown]
	s_waitcnt vmcnt(0)
	v_add_u16_e32 v18, v36, v0
	v_cndmask_b32_e32 v36, v3, v4, vcc
	s_and_b64 vcc, s[88:89], s[28:29]
	v_sub_u16_e32 v3, 0, v59
	v_cndmask_b32_e32 v3, v59, v3, vcc
	v_and_b32_e32 v3, 0xff, v3
	v_mul_hi_u32 v4, v3, s92
	buffer_load_dword v0, off, s[0:3], s33 offset:244 ; 4-byte Folded Reload
	v_mul_lo_u32 v5, s27, v4
	v_sub_u32_e32 v3, v3, v5
	v_cmp_le_u32_e64 s[28:29], s27, v3
	v_addc_co_u32_e64 v3, s[28:29], 0, v4, s[28:29]
	v_sub_u32_e32 v4, 0, v3
	v_cmp_lt_i16_sdwa s[28:29], sext(v58), v44 src0_sel:BYTE_0 src1_sel:DWORD
	v_cndmask_b32_e32 v35, v3, v4, vcc
	s_and_b64 vcc, s[88:89], s[28:29]
	v_sub_u16_e32 v3, 0, v58
	v_cndmask_b32_e32 v3, v58, v3, vcc
	v_and_b32_e32 v3, 0xff, v3
	v_mul_hi_u32 v4, v3, s92
	v_mul_lo_u32 v5, s27, v4
	v_sub_u32_e32 v3, v3, v5
	v_cmp_le_u32_e64 s[28:29], s27, v3
	v_addc_co_u32_e64 v3, s[28:29], 0, v4, s[28:29]
	v_sub_u32_e32 v4, 0, v3
	v_cmp_lt_i16_sdwa s[28:29], sext(v57), v44 src0_sel:BYTE_0 src1_sel:DWORD
	v_cndmask_b32_e32 v34, v3, v4, vcc
	s_and_b64 vcc, s[88:89], s[28:29]
	v_sub_u16_e32 v3, 0, v57
	v_cndmask_b32_e32 v3, v57, v3, vcc
	v_and_b32_e32 v3, 0xff, v3
	v_mul_hi_u32 v4, v3, s92
	;; [unrolled: 12-line block ×4, first 2 shown]
	v_mul_lo_u32 v5, s27, v4
	s_waitcnt vmcnt(0)
	v_add_u16_e32 v16, v38, v0
	buffer_load_dword v0, off, s[0:3], s33 offset:276 ; 4-byte Folded Reload
	v_sub_u32_e32 v3, v3, v5
	v_cmp_le_u32_e64 s[28:29], s27, v3
	v_addc_co_u32_e64 v3, s[28:29], 0, v4, s[28:29]
	v_sub_u32_e32 v4, 0, v3
	v_cmp_lt_i16_sdwa s[28:29], sext(v53), v44 src0_sel:BYTE_0 src1_sel:DWORD
	v_cndmask_b32_e32 v31, v3, v4, vcc
	s_and_b64 vcc, s[88:89], s[28:29]
	v_sub_u16_e32 v3, 0, v53
	v_cndmask_b32_e32 v3, v53, v3, vcc
	v_and_b32_e32 v3, 0xff, v3
	v_mul_hi_u32 v4, v3, s92
	buffer_load_dword v53, off, s[0:3], s33 offset:56 ; 4-byte Folded Reload
	v_mul_lo_u32 v5, s27, v4
	v_sub_u32_e32 v3, v3, v5
	v_cmp_le_u32_e64 s[28:29], s27, v3
	v_addc_co_u32_e64 v3, s[28:29], 0, v4, s[28:29]
	v_sub_u32_e32 v4, 0, v3
	v_cmp_lt_i16_sdwa s[28:29], sext(v52), v44 src0_sel:BYTE_0 src1_sel:DWORD
	v_cndmask_b32_e32 v30, v3, v4, vcc
	s_and_b64 vcc, s[88:89], s[28:29]
	v_sub_u16_e32 v3, 0, v52
	v_cndmask_b32_e32 v3, v52, v3, vcc
	v_and_b32_e32 v3, 0xff, v3
	v_mul_hi_u32 v4, v3, s92
	v_mul_lo_u32 v5, s27, v4
	v_sub_u32_e32 v3, v3, v5
	v_cmp_le_u32_e64 s[28:29], s27, v3
	v_addc_co_u32_e64 v3, s[28:29], 0, v4, s[28:29]
	v_sub_u32_e32 v4, 0, v3
	v_cmp_lt_i16_sdwa s[28:29], sext(v42), v44 src0_sel:BYTE_0 src1_sel:DWORD
	v_cndmask_b32_e32 v29, v3, v4, vcc
	s_and_b64 vcc, s[88:89], s[28:29]
	v_sub_u16_e32 v3, 0, v42
	v_cndmask_b32_e32 v3, v42, v3, vcc
	v_and_b32_e32 v3, 0xff, v3
	v_mul_hi_u32 v4, v3, s92
	;; [unrolled: 12-line block ×4, first 2 shown]
	s_waitcnt vmcnt(1)
	v_add_u16_e32 v0, v48, v0
	v_mul_lo_u32 v4, s27, v3
	v_sub_u32_e32 v2, v2, v4
	v_cmp_le_u32_e64 s[28:29], s27, v2
	v_addc_co_u32_e64 v2, s[28:29], 0, v3, s[28:29]
	v_sub_u32_e32 v3, 0, v2
	v_cmp_lt_i16_sdwa s[28:29], sext(v46), v44 src0_sel:BYTE_0 src1_sel:DWORD
	v_cndmask_b32_e32 v13, v2, v3, vcc
	s_and_b64 vcc, s[88:89], s[28:29]
	v_sub_u16_e32 v2, 0, v46
	v_cndmask_b32_e32 v2, v46, v2, vcc
	v_and_b32_e32 v2, 0xff, v2
	v_mul_hi_u32 v3, v2, s92
	v_mul_lo_u32 v4, s27, v3
	v_sub_u32_e32 v2, v2, v4
	v_cmp_le_u32_e64 s[28:29], s27, v2
	v_addc_co_u32_e64 v2, s[28:29], 0, v3, s[28:29]
	v_sub_u32_e32 v3, 0, v2
	v_cmp_lt_i16_sdwa s[28:29], sext(v41), v44 src0_sel:BYTE_0 src1_sel:DWORD
	v_cndmask_b32_e32 v12, v2, v3, vcc
	s_and_b64 vcc, s[88:89], s[28:29]
	v_sub_u16_e32 v2, 0, v41
	v_cndmask_b32_e32 v2, v41, v2, vcc
	v_and_b32_e32 v2, 0xff, v2
	v_mul_hi_u32 v3, v2, s92
	;; [unrolled: 12-line block ×19, first 2 shown]
	v_mul_lo_u32 v16, s27, v2
	v_sub_u32_e32 v1, v1, v16
	v_cmp_le_u32_e64 s[28:29], s27, v1
	v_addc_co_u32_e64 v1, s[28:29], 0, v2, s[28:29]
	v_sub_u32_e32 v2, 0, v1
	v_cndmask_b32_e32 v16, v1, v2, vcc
	v_add_co_u32_e32 v1, vcc, s65, v10
	v_addc_co_u32_e32 v2, vcc, -1, v11, vcc
	flat_store_byte v[1:2], v7 glc slc
	v_add_co_u32_e32 v1, vcc, s66, v10
	v_addc_co_u32_e32 v2, vcc, -1, v11, vcc
	flat_store_byte v[1:2], v54 glc slc
	;; [unrolled: 3-line block ×5, first 2 shown]
	v_add_co_u32_e32 v1, vcc, s70, v10
	v_addc_co_u32_e32 v2, vcc, -1, v11, vcc
	buffer_load_dword v7, off, s[0:3], s33 offset:60 ; 4-byte Folded Reload
	s_nop 0
	flat_store_byte v[1:2], v33 glc slc
	buffer_load_dword v33, off, s[0:3], s33 offset:112 ; 4-byte Folded Reload
	v_add_co_u32_e32 v1, vcc, s71, v10
	v_addc_co_u32_e32 v2, vcc, -1, v11, vcc
	flat_store_byte v[1:2], v32 glc slc
	v_add_co_u32_e32 v1, vcc, s80, v10
	v_addc_co_u32_e32 v2, vcc, -1, v11, vcc
	flat_store_byte v[1:2], v31 glc slc
	;; [unrolled: 3-line block ×24, first 2 shown]
	v_add_co_u32_e32 v1, vcc, s54, v10
	v_addc_co_u32_e32 v2, vcc, -1, v11, vcc
	s_waitcnt vmcnt(0)
	v_add_co_u32_e32 v50, vcc, v50, v33
	v_addc_co_u32_e32 v51, vcc, 0, v51, vcc
	v_add_co_u32_e32 v8, vcc, v8, v33
	v_addc_co_u32_e32 v9, vcc, 0, v9, vcc
	flat_store_byte v[1:2], v0 glc slc
	flat_store_byte v[10:11], v16 glc slc
	v_add_co_u32_e32 v10, vcc, v10, v33
	v_sub_u32_e32 v7, v7, v53
	v_addc_co_u32_e32 v11, vcc, 0, v11, vcc
	v_cmp_gt_i32_e32 vcc, 1, v7
	s_or_b64 s[90:91], vcc, s[90:91]
	s_andn2_b64 exec, exec, s[90:91]
	s_cbranch_execnz .LBB6_620
; %bb.621:                              ;   in Loop: Header=BB6_491 Depth=2
	s_or_b64 exec, exec, s[90:91]
	buffer_load_dword v42, off, s[0:3], s33 offset:288 ; 4-byte Folded Reload
	buffer_load_dword v43, off, s[0:3], s33 offset:292 ; 4-byte Folded Reload
	;; [unrolled: 1-line block ×35, first 2 shown]
	v_mov_b32_e32 v51, v44
	v_mov_b32_e32 v54, 1
	;; [unrolled: 1-line block ×4, first 2 shown]
.LBB6_622:                              ;   in Loop: Header=BB6_491 Depth=2
	s_or_b64 exec, exec, s[42:43]
	s_waitcnt vmcnt(0)
	v_lshlrev_b32_e32 v0, 11, v1
	v_cmp_ne_u32_e32 vcc, v4, v0
	s_and_b64 exec, exec, vcc
	s_cbranch_execz .LBB6_626
; %bb.623:                              ;   in Loop: Header=BB6_491 Depth=2
	v_lshlrev_b32_e32 v1, 6, v2
	v_sub_u32_e32 v1, v5, v1
	v_lshlrev_b32_e32 v2, 6, v7
	v_sub_u32_e32 v1, v1, v2
	v_add_u32_e32 v1, v0, v1
	v_sub_u32_e32 v0, v4, v1
	v_cmp_lt_i32_e32 vcc, 0, v0
	s_and_b64 exec, exec, vcc
	s_cbranch_execz .LBB6_626
; %bb.624:                              ;   in Loop: Header=BB6_491 Depth=2
	v_cvt_f32_u32_e32 v2, s27
	v_add_u32_e32 v1, v1, v3
	s_trap 2
	ds_read_b128 v[3:6], v0
	v_rcp_iflag_f32_e32 v2, v2
	s_sub_i32 s28, 0, s27
	s_mov_b64 s[88:89], 0
	s_waitcnt lgkmcnt(0)
	v_add_co_u32_e32 v3, vcc, v3, v1
	v_mul_f32_e32 v2, 0x4f7ffffe, v2
	v_cvt_u32_f32_e32 v2, v2
	v_readfirstlane_b32 s29, v2
	s_mul_i32 s28, s28, s29
	s_mul_hi_u32 s28, s29, s28
	s_add_i32 s29, s29, s28
	s_mul_hi_u32 s28, s29, -1
	v_ashrrev_i32_e32 v2, 31, v1
	s_mul_i32 s29, s28, s27
	v_addc_co_u32_e32 v4, vcc, v4, v2, vcc
	s_not_b32 s29, s29
	v_add_co_u32_e32 v8, vcc, v5, v1
	s_add_i32 s42, s28, 1
	s_sub_i32 s43, s29, s27
	v_addc_co_u32_e32 v9, vcc, v6, v2, vcc
	ds_read_b64 v[5:6], v0
	s_cmp_ge_u32 s29, s27
	s_cselect_b32 s28, s42, s28
	s_cselect_b32 s29, s43, s29
	s_add_i32 s42, s28, 1
	s_cmp_ge_u32 s29, s27
	s_cselect_b32 s90, s42, s28
	s_waitcnt lgkmcnt(0)
	v_add_co_u32_e32 v10, vcc, v5, v1
	s_cmp_lt_i32 s30, 0
	v_addc_co_u32_e32 v11, vcc, v6, v2, vcc
	s_cselect_b64 s[42:43], -1, 0
.LBB6_625:                              ;   Parent Loop BB6_47 Depth=1
                                        ;     Parent Loop BB6_491 Depth=2
                                        ; =>    This Inner Loop Header: Depth=3
	flat_load_ubyte v1, v[3:4] glc slc
	flat_load_ubyte v2, v[8:9] glc slc
	v_add_co_u32_e32 v3, vcc, v3, v50
	v_addc_co_u32_e32 v4, vcc, 0, v4, vcc
	v_add_co_u32_e32 v8, vcc, v8, v50
	v_addc_co_u32_e32 v9, vcc, 0, v9, vcc
	v_sub_u32_e32 v0, v0, v50
	v_cmp_gt_i32_e32 vcc, 1, v0
	s_waitcnt vmcnt(0) lgkmcnt(0)
	v_add_u16_e32 v1, v2, v1
	v_cmp_lt_i16_sdwa s[28:29], sext(v1), v51 src0_sel:BYTE_0 src1_sel:DWORD
	v_sub_u16_e32 v2, 0, v1
	s_and_b64 s[28:29], s[42:43], s[28:29]
	v_cndmask_b32_e64 v1, v1, v2, s[28:29]
	v_and_b32_e32 v1, 0xff, v1
	v_mul_hi_u32 v2, v1, s90
	s_or_b64 s[88:89], vcc, s[88:89]
	v_mul_lo_u32 v5, s27, v2
	v_sub_u32_e32 v1, v1, v5
	v_cmp_le_u32_e32 vcc, s27, v1
	v_addc_co_u32_e32 v1, vcc, 0, v2, vcc
	v_sub_u32_e32 v2, 0, v1
	v_cndmask_b32_e64 v1, v1, v2, s[28:29]
	flat_store_byte v[10:11], v1 glc slc
	v_add_co_u32_e32 v10, vcc, v10, v50
	v_addc_co_u32_e32 v11, vcc, 0, v11, vcc
	s_andn2_b64 exec, exec, s[88:89]
	s_cbranch_execnz .LBB6_625
.LBB6_626:                              ;   in Loop: Header=BB6_491 Depth=2
	s_or_b64 exec, exec, s[40:41]
	v_cmp_lt_i32_e64 s[28:29], 0, v47
	s_and_saveexec_b64 s[40:41], s[10:11]
	s_cbranch_execz .LBB6_580
.LBB6_627:                              ;   in Loop: Header=BB6_491 Depth=2
	s_and_saveexec_b64 s[42:43], s[56:57]
	s_xor_b64 s[42:43], exec, s[42:43]
	s_cbranch_execz .LBB6_642
; %bb.628:                              ;   in Loop: Header=BB6_491 Depth=2
	s_and_saveexec_b64 s[88:89], s[16:17]
	s_cbranch_execz .LBB6_641
; %bb.629:                              ;   in Loop: Header=BB6_491 Depth=2
	s_mov_b64 s[92:93], exec
	v_mbcnt_lo_u32_b32 v0, s92, 0
	v_mbcnt_hi_u32_b32 v0, s93, v0
	v_cmp_eq_u32_e32 vcc, 0, v0
	s_waitcnt vmcnt(0) lgkmcnt(0)
	buffer_wbinvl1_vol
	s_and_saveexec_b64 s[90:91], vcc
	s_cbranch_execz .LBB6_631
; %bb.630:                              ;   in Loop: Header=BB6_491 Depth=2
	s_bcnt1_i32_b64 s27, s[92:93]
	v_mov_b32_e32 v0, s27
	v_mov_b32_e32 v1, v51
	ds_add_u64 v0, v[0:1]
	s_trap 2
.LBB6_631:                              ;   in Loop: Header=BB6_491 Depth=2
	s_or_b64 exec, exec, s[90:91]
	s_trap 2
	ds_read_b64 v[0:1], v0
	s_waitcnt lgkmcnt(0)
	v_add_co_u32_e32 v56, vcc, v56, v53
	v_addc_co_u32_e32 v57, vcc, 0, v57, vcc
	v_cmp_lt_u64_e32 vcc, v[0:1], v[56:57]
	s_and_saveexec_b64 s[90:91], vcc
	s_cbranch_execz .LBB6_640
; %bb.632:                              ;   in Loop: Header=BB6_491 Depth=2
	s_mov_b32 s27, 0
	s_mov_b64 s[92:93], 0
                                        ; implicit-def: $sgpr94_sgpr95
                                        ; implicit-def: $sgpr30_sgpr31
	s_branch .LBB6_634
.LBB6_633:                              ;   in Loop: Header=BB6_634 Depth=3
	s_or_b64 exec, exec, s[36:37]
	s_and_b64 vcc, exec, vcc
	s_or_b64 s[92:93], vcc, s[92:93]
	s_andn2_b64 s[94:95], s[94:95], exec
	s_and_b64 vcc, s[30:31], exec
	s_or_b64 s[94:95], s[94:95], vcc
	s_andn2_b64 exec, exec, s[92:93]
	s_cbranch_execz .LBB6_638
.LBB6_634:                              ;   Parent Loop BB6_47 Depth=1
                                        ;     Parent Loop BB6_491 Depth=2
                                        ; =>    This Inner Loop Header: Depth=3
	s_add_i32 s27, s27, 1
	s_cmpk_lg_i32 s27, 0x2710
	s_cselect_b64 s[34:35], -1, 0
	s_and_b64 vcc, exec, s[34:35]
	s_cbranch_vccz .LBB6_636
; %bb.635:                              ;   in Loop: Header=BB6_634 Depth=3
	s_mov_b64 vcc, -1
	s_or_b64 s[30:31], s[30:31], exec
	s_and_saveexec_b64 s[36:37], s[34:35]
	s_cbranch_execz .LBB6_633
	s_branch .LBB6_637
.LBB6_636:                              ;   in Loop: Header=BB6_634 Depth=3
	s_trap 2
	ds_read_b64 v[0:1], v0
	s_andn2_b64 s[34:35], s[34:35], exec
	s_mov_b32 s27, 0
	s_waitcnt lgkmcnt(0)
	flat_load_dword v0, v[0:1] glc
	s_waitcnt vmcnt(0) lgkmcnt(0)
	buffer_wbinvl1_vol
	v_cmp_eq_u32_e32 vcc, 0, v0
	s_and_b64 vcc, vcc, exec
	s_or_b64 s[34:35], s[34:35], vcc
	s_mov_b64 vcc, -1
	s_or_b64 s[30:31], s[30:31], exec
	s_and_saveexec_b64 s[36:37], s[34:35]
	s_cbranch_execz .LBB6_633
.LBB6_637:                              ;   in Loop: Header=BB6_634 Depth=3
	s_sleep 1
	s_trap 2
	ds_read_b64 v[0:1], v0
	s_waitcnt lgkmcnt(0)
	s_andn2_b64 s[30:31], s[30:31], exec
	v_cmp_ge_u64_e32 vcc, v[0:1], v[56:57]
	s_orn2_b64 vcc, vcc, exec
	s_branch .LBB6_633
.LBB6_638:                              ;   in Loop: Header=BB6_491 Depth=2
	s_or_b64 exec, exec, s[92:93]
	s_and_saveexec_b64 s[92:93], s[94:95]
	s_xor_b64 s[92:93], exec, s[92:93]
	s_cbranch_execz .LBB6_640
; %bb.639:                              ;   in Loop: Header=BB6_491 Depth=2
	ds_write_b32 v0, v54
	s_trap 2
.LBB6_640:                              ;   in Loop: Header=BB6_491 Depth=2
	s_or_b64 exec, exec, s[90:91]
	;;#ASMSTART
	s_wakeup
	;;#ASMEND
.LBB6_641:                              ;   in Loop: Header=BB6_491 Depth=2
	s_or_b64 exec, exec, s[88:89]
.LBB6_642:                              ;   in Loop: Header=BB6_491 Depth=2
	s_andn2_saveexec_b64 s[42:43], s[42:43]
	s_cbranch_execz .LBB6_644
; %bb.643:                              ;   in Loop: Header=BB6_491 Depth=2
	s_waitcnt vmcnt(0) lgkmcnt(0)
	buffer_wbinvl1_vol
	s_barrier
.LBB6_644:                              ;   in Loop: Header=BB6_491 Depth=2
	s_or_b64 exec, exec, s[42:43]
	s_or_b64 exec, exec, s[40:41]
                                        ; implicit-def: $vgpr0
	s_and_saveexec_b64 s[40:41], s[24:25]
	s_xor_b64 s[40:41], exec, s[40:41]
	s_cbranch_execnz .LBB6_581
.LBB6_645:                              ;   in Loop: Header=BB6_491 Depth=2
	s_andn2_saveexec_b64 s[28:29], s[40:41]
	s_cbranch_execz .LBB6_664
.LBB6_646:                              ;   in Loop: Header=BB6_491 Depth=2
	s_and_saveexec_b64 s[40:41], s[56:57]
	s_xor_b64 s[40:41], exec, s[40:41]
	s_cbranch_execz .LBB6_661
; %bb.647:                              ;   in Loop: Header=BB6_491 Depth=2
	s_and_saveexec_b64 s[42:43], s[16:17]
	s_cbranch_execz .LBB6_660
; %bb.648:                              ;   in Loop: Header=BB6_491 Depth=2
	s_mov_b64 s[90:91], exec
	v_mbcnt_lo_u32_b32 v0, s90, 0
	v_mbcnt_hi_u32_b32 v0, s91, v0
	v_cmp_eq_u32_e32 vcc, 0, v0
	;;#ASMSTART
	s_waitcnt lgkmcnt(0) vmcnt(0)
	;;#ASMEND
	s_and_saveexec_b64 s[88:89], vcc
	s_cbranch_execz .LBB6_650
; %bb.649:                              ;   in Loop: Header=BB6_491 Depth=2
	s_bcnt1_i32_b64 s27, s[90:91]
	v_mov_b32_e32 v0, s27
	v_mov_b32_e32 v1, v51
	s_waitcnt lgkmcnt(0)
	ds_add_u64 v0, v[0:1]
	s_trap 2
.LBB6_650:                              ;   in Loop: Header=BB6_491 Depth=2
	s_or_b64 exec, exec, s[88:89]
	s_trap 2
	ds_read_b64 v[0:1], v0
	s_waitcnt lgkmcnt(0)
	v_add_co_u32_e32 v56, vcc, v56, v53
	v_addc_co_u32_e32 v57, vcc, 0, v57, vcc
	v_cmp_lt_u64_e32 vcc, v[0:1], v[56:57]
	s_and_saveexec_b64 s[88:89], vcc
	s_cbranch_execz .LBB6_659
; %bb.651:                              ;   in Loop: Header=BB6_491 Depth=2
	s_mov_b32 s27, 0
	s_mov_b64 s[90:91], 0
                                        ; implicit-def: $sgpr92_sgpr93
                                        ; implicit-def: $sgpr94_sgpr95
	s_branch .LBB6_653
.LBB6_652:                              ;   in Loop: Header=BB6_653 Depth=3
	s_or_b64 exec, exec, s[34:35]
	s_and_b64 vcc, exec, vcc
	s_or_b64 s[90:91], vcc, s[90:91]
	s_andn2_b64 s[92:93], s[92:93], exec
	s_and_b64 vcc, s[94:95], exec
	s_or_b64 s[92:93], s[92:93], vcc
	s_andn2_b64 exec, exec, s[90:91]
	s_cbranch_execz .LBB6_657
.LBB6_653:                              ;   Parent Loop BB6_47 Depth=1
                                        ;     Parent Loop BB6_491 Depth=2
                                        ; =>    This Inner Loop Header: Depth=3
	s_add_i32 s27, s27, 1
	s_cmpk_lg_i32 s27, 0x2710
	s_cselect_b64 s[30:31], -1, 0
	s_and_b64 vcc, exec, s[30:31]
	s_cbranch_vccz .LBB6_655
; %bb.654:                              ;   in Loop: Header=BB6_653 Depth=3
	s_mov_b64 vcc, -1
	s_or_b64 s[94:95], s[94:95], exec
	s_and_saveexec_b64 s[34:35], s[30:31]
	s_cbranch_execz .LBB6_652
	s_branch .LBB6_656
.LBB6_655:                              ;   in Loop: Header=BB6_653 Depth=3
	s_trap 2
	ds_read_b64 v[0:1], v0
	s_andn2_b64 s[30:31], s[30:31], exec
	s_mov_b32 s27, 0
	s_waitcnt vmcnt(0) lgkmcnt(0)
	flat_load_dword v0, v[0:1] glc
	s_waitcnt vmcnt(0) lgkmcnt(0)
	buffer_wbinvl1_vol
	v_cmp_eq_u32_e32 vcc, 0, v0
	s_and_b64 vcc, vcc, exec
	s_or_b64 s[30:31], s[30:31], vcc
	s_mov_b64 vcc, -1
	s_or_b64 s[94:95], s[94:95], exec
	s_and_saveexec_b64 s[34:35], s[30:31]
	s_cbranch_execz .LBB6_652
.LBB6_656:                              ;   in Loop: Header=BB6_653 Depth=3
	s_sleep 1
	s_trap 2
	ds_read_b64 v[0:1], v0
	s_waitcnt lgkmcnt(0)
	s_andn2_b64 s[94:95], s[94:95], exec
	v_cmp_ge_u64_e32 vcc, v[0:1], v[56:57]
	s_orn2_b64 vcc, vcc, exec
	s_branch .LBB6_652
.LBB6_657:                              ;   in Loop: Header=BB6_491 Depth=2
	s_or_b64 exec, exec, s[90:91]
	s_and_saveexec_b64 s[90:91], s[92:93]
	s_xor_b64 s[90:91], exec, s[90:91]
	s_cbranch_execz .LBB6_659
; %bb.658:                              ;   in Loop: Header=BB6_491 Depth=2
	ds_write_b32 v0, v54
	s_trap 2
.LBB6_659:                              ;   in Loop: Header=BB6_491 Depth=2
	s_or_b64 exec, exec, s[88:89]
	;;#ASMSTART
	s_wakeup
	;;#ASMEND
.LBB6_660:                              ;   in Loop: Header=BB6_491 Depth=2
	s_or_b64 exec, exec, s[42:43]
.LBB6_661:                              ;   in Loop: Header=BB6_491 Depth=2
	s_andn2_saveexec_b64 s[40:41], s[40:41]
	s_cbranch_execz .LBB6_663
; %bb.662:                              ;   in Loop: Header=BB6_491 Depth=2
	;;#ASMSTART
	s_waitcnt lgkmcnt(0) vmcnt(0)
	;;#ASMEND
	s_waitcnt vmcnt(0) lgkmcnt(0)
	s_barrier
.LBB6_663:                              ;   in Loop: Header=BB6_491 Depth=2
	s_or_b64 exec, exec, s[40:41]
	v_and_b32_e32 v0, 16, v45
.LBB6_664:                              ;   in Loop: Header=BB6_491 Depth=2
	s_or_b64 exec, exec, s[28:29]
	v_cmp_ne_u32_e32 vcc, 0, v0
	s_xor_b64 s[28:29], s[12:13], -1
	s_and_b64 s[40:41], vcc, s[28:29]
	s_and_saveexec_b64 s[28:29], s[40:41]
	s_cbranch_execz .LBB6_666
; %bb.665:                              ;   in Loop: Header=BB6_491 Depth=2
	flat_store_dword v[40:41], v54
.LBB6_666:                              ;   in Loop: Header=BB6_491 Depth=2
	s_or_b64 exec, exec, s[28:29]
	v_and_b32_e32 v0, 48, v45
	v_cmp_ne_u32_e32 vcc, 0, v0
	s_and_saveexec_b64 s[28:29], vcc
	s_cbranch_execz .LBB6_490
; %bb.667:                              ;   in Loop: Header=BB6_491 Depth=2
	s_waitcnt vmcnt(0)
	v_add_co_u32_e32 v15, vcc, 2, v15
	v_addc_co_u32_e32 v16, vcc, 0, v16, vcc
	flat_store_dwordx2 v[42:43], v[15:16]
	s_branch .LBB6_490
.LBB6_668:                              ;   in Loop: Header=BB6_47 Depth=1
	s_or_b64 exec, exec, s[76:77]
.LBB6_669:                              ;   in Loop: Header=BB6_47 Depth=1
	s_or_b64 exec, exec, s[74:75]
	v_cmp_gt_i32_e32 vcc, 2, v0
	s_and_saveexec_b64 s[40:41], vcc
	s_cbranch_execz .LBB6_745
; %bb.670:                              ;   in Loop: Header=BB6_47 Depth=1
	v_cmp_eq_u32_e64 s[74:75], 0, v0
	s_mov_b64 s[42:43], 0
	s_branch .LBB6_672
.LBB6_671:                              ;   in Loop: Header=BB6_672 Depth=2
	s_or_b64 exec, exec, s[28:29]
	v_add_u32_e32 v14, v46, v14
	s_mov_b64 s[74:75], 0
	s_andn2_b64 exec, exec, s[42:43]
	s_cbranch_execz .LBB6_744
.LBB6_672:                              ;   Parent Loop BB6_47 Depth=1
                                        ; =>  This Loop Header: Depth=2
                                        ;       Child Loop BB6_678 Depth 3
                                        ;       Child Loop BB6_706 Depth 3
	;; [unrolled: 1-line block ×3, first 2 shown]
	v_sub_u32_e32 v0, v52, v14
	v_min_i32_e32 v46, v46, v0
	v_and_b32_e32 v0, 12, v45
	v_cmp_ne_u32_e32 vcc, 0, v0
	s_and_saveexec_b64 s[76:77], vcc
	s_cbranch_execz .LBB6_698
; %bb.673:                              ;   in Loop: Header=BB6_672 Depth=2
	v_and_b32_e32 v0, 8, v45
	s_waitcnt vmcnt(0) lgkmcnt(0)
	v_add_co_u32_e32 v1, vcc, v37, v0
	v_addc_co_u32_e32 v2, vcc, 0, v38, vcc
	v_add_co_u32_e32 v3, vcc, 2, v15
	v_addc_co_u32_e32 v4, vcc, 0, v16, vcc
	v_cmp_lt_u64_e32 vcc, v[1:2], v[3:4]
	s_and_saveexec_b64 s[78:79], vcc
	s_cbranch_execz .LBB6_685
; %bb.674:                              ;   in Loop: Header=BB6_672 Depth=2
	v_and_b32_e32 v1, 64, v45
	s_mov_b32 s26, 0
	v_cmp_eq_u32_e32 vcc, 0, v1
	s_mov_b64 s[88:89], 0
                                        ; implicit-def: $sgpr90_sgpr91
                                        ; implicit-def: $sgpr92_sgpr93
                                        ; implicit-def: $sgpr94_sgpr95
	s_branch .LBB6_678
.LBB6_675:                              ;   in Loop: Header=BB6_678 Depth=3
	s_waitcnt vmcnt(0) lgkmcnt(0)
	v_add_co_u32_e64 v5, s[28:29], v37, v0
	v_addc_co_u32_e64 v6, s[28:29], 0, v38, s[28:29]
	v_cmp_ge_u64_e64 s[28:29], v[5:6], v[3:4]
	s_or_b64 s[36:37], s[36:37], exec
	s_orn2_b64 s[34:35], s[28:29], exec
.LBB6_676:                              ;   in Loop: Header=BB6_678 Depth=3
	s_or_b64 exec, exec, s[48:49]
	s_andn2_b64 s[28:29], s[94:95], exec
	s_and_b64 s[94:95], s[36:37], exec
	s_or_b64 s[94:95], s[28:29], s[94:95]
	s_andn2_b64 s[28:29], s[92:93], exec
	s_and_b64 s[92:93], s[34:35], exec
	s_or_b64 s[92:93], s[28:29], s[92:93]
.LBB6_677:                              ;   in Loop: Header=BB6_678 Depth=3
	s_or_b64 exec, exec, s[30:31]
	s_and_b64 s[28:29], exec, s[92:93]
	s_or_b64 s[88:89], s[28:29], s[88:89]
	s_andn2_b64 s[28:29], s[90:91], exec
	s_and_b64 s[90:91], s[94:95], exec
	s_or_b64 s[90:91], s[28:29], s[90:91]
	s_andn2_b64 exec, exec, s[88:89]
	s_cbranch_execz .LBB6_682
.LBB6_678:                              ;   Parent Loop BB6_47 Depth=1
                                        ;     Parent Loop BB6_672 Depth=2
                                        ; =>    This Inner Loop Header: Depth=3
	s_sleep 1
	s_waitcnt vmcnt(0) lgkmcnt(0)
	flat_load_dwordx2 v[37:38], v[42:43] glc
	s_or_b64 s[94:95], s[94:95], exec
	s_or_b64 s[92:93], s[92:93], exec
                                        ; implicit-def: $vgpr1
	s_and_saveexec_b64 s[30:31], vcc
	s_cbranch_execz .LBB6_677
; %bb.679:                              ;   in Loop: Header=BB6_678 Depth=3
	s_cmpk_lt_i32 s26, 0x270f
	s_cselect_b64 s[38:39], -1, 0
	s_cmpk_gt_i32 s26, 0x270e
	s_mov_b64 s[34:35], -1
	s_cbranch_scc0 .LBB6_681
; %bb.680:                              ;   in Loop: Header=BB6_678 Depth=3
	s_trap 2
	ds_read_b64 v[1:2], v0
	s_andn2_b64 s[38:39], s[38:39], exec
	s_mov_b32 s26, 0
	s_mov_b64 s[36:37], 0
	s_waitcnt vmcnt(0) lgkmcnt(0)
	flat_load_dword v1, v[1:2] glc
	s_waitcnt vmcnt(0) lgkmcnt(0)
	buffer_wbinvl1_vol
	v_cmp_eq_u32_e64 s[28:29], 0, v1
	s_and_b64 s[28:29], s[28:29], exec
	s_or_b64 s[38:39], s[38:39], s[28:29]
	s_and_saveexec_b64 s[48:49], s[38:39]
	s_cbranch_execz .LBB6_676
	s_branch .LBB6_675
.LBB6_681:                              ;   in Loop: Header=BB6_678 Depth=3
	s_add_i32 s26, s26, 1
	s_mov_b64 s[36:37], -1
                                        ; implicit-def: $vgpr1
	s_and_saveexec_b64 s[48:49], s[38:39]
	s_cbranch_execz .LBB6_676
	s_branch .LBB6_675
.LBB6_682:                              ;   in Loop: Header=BB6_672 Depth=2
	s_or_b64 exec, exec, s[88:89]
	s_xor_b64 s[26:27], s[90:91], -1
	s_and_saveexec_b64 s[28:29], s[26:27]
	s_xor_b64 s[28:29], exec, s[28:29]
	s_cbranch_execz .LBB6_684
; %bb.683:                              ;   in Loop: Header=BB6_672 Depth=2
	v_or_b32_e32 v45, 64, v45
	s_waitcnt lgkmcnt(0)
	ds_write_b32 v0, v1
	s_trap 2
.LBB6_684:                              ;   in Loop: Header=BB6_672 Depth=2
	s_or_b64 exec, exec, s[28:29]
.LBB6_685:                              ;   in Loop: Header=BB6_672 Depth=2
	s_or_b64 exec, exec, s[78:79]
	v_and_b32_e32 v1, 0x108, v45
	v_cmp_ne_u32_e32 vcc, s55, v1
	;;#ASMSTART
	s_wakeup
	;;#ASMEND
                                        ; implicit-def: $vgpr8_vgpr9
	s_and_saveexec_b64 s[26:27], vcc
	s_xor_b64 s[28:29], exec, s[26:27]
; %bb.686:                              ;   in Loop: Header=BB6_672 Depth=2
	v_and_b32_e32 v8, 7, v15
	v_mov_b32_e32 v9, v51
                                        ; implicit-def: $vgpr15_vgpr16
; %bb.687:                              ;   in Loop: Header=BB6_672 Depth=2
	s_andn2_saveexec_b64 s[28:29], s[28:29]
	s_cbranch_execz .LBB6_689
; %bb.688:                              ;   in Loop: Header=BB6_672 Depth=2
	buffer_load_dword v9, off, s[0:3], s33 offset:120 ; 4-byte Folded Reload
	buffer_load_dword v10, off, s[0:3], s33 offset:124 ; 4-byte Folded Reload
	;; [unrolled: 1-line block ×4, first 2 shown]
	v_and_b32_e32 v8, 7, v15
	v_ashrrev_i32_e32 v47, 31, v46
	s_waitcnt vmcnt(0)
	v_mad_u64_u32 v[1:2], s[26:27], v8, 24, v[9:10]
	v_mov_b32_e32 v9, v51
	flat_store_dwordx2 v[1:2], v[46:47] offset:8
.LBB6_689:                              ;   in Loop: Header=BB6_672 Depth=2
	s_or_b64 exec, exec, s[28:29]
	v_and_b32_e32 v1, 0x100, v45
	v_cmp_ne_u32_e32 vcc, 0, v1
	s_mov_b64 s[28:29], -1
                                        ; implicit-def: $vgpr10_vgpr11
	s_and_saveexec_b64 s[78:79], vcc
	s_cbranch_execz .LBB6_693
; %bb.690:                              ;   in Loop: Header=BB6_672 Depth=2
	buffer_load_dword v10, off, s[0:3], s33 offset:120 ; 4-byte Folded Reload
	buffer_load_dword v11, off, s[0:3], s33 offset:124 ; 4-byte Folded Reload
	;; [unrolled: 1-line block ×4, first 2 shown]
	s_waitcnt vmcnt(0)
	v_mad_u64_u32 v[12:13], s[26:27], v8, 24, v[10:11]
                                        ; implicit-def: $vgpr10_vgpr11
	v_mov_b32_e32 v1, v13
	v_mad_u64_u32 v[1:2], s[26:27], v9, 24, v[1:2]
	v_mov_b32_e32 v13, v1
	flat_load_dword v1, v[12:13]
	s_waitcnt vmcnt(0) lgkmcnt(0)
	v_cmp_ne_u32_e32 vcc, 1, v1
	v_cmp_eq_u32_e64 s[28:29], 1, v1
	s_and_saveexec_b64 s[88:89], s[28:29]
	s_cbranch_execz .LBB6_692
; %bb.691:                              ;   in Loop: Header=BB6_672 Depth=2
	flat_load_dword v10, v[12:13] offset:4 glc
	s_waitcnt vmcnt(0) lgkmcnt(0)
	v_ashrrev_i32_e32 v11, 31, v10
.LBB6_692:                              ;   in Loop: Header=BB6_672 Depth=2
	s_or_b64 exec, exec, s[88:89]
	s_orn2_b64 s[28:29], vcc, exec
.LBB6_693:                              ;   in Loop: Header=BB6_672 Depth=2
	s_or_b64 exec, exec, s[78:79]
	s_and_saveexec_b64 s[78:79], s[28:29]
	s_cbranch_execz .LBB6_695
; %bb.694:                              ;   in Loop: Header=BB6_672 Depth=2
	buffer_load_dword v5, off, s[0:3], s33 offset:144 ; 4-byte Folded Reload
	v_mul_lo_u32 v2, v8, v39
	s_waitcnt vmcnt(0)
	v_mul_lo_u32 v1, v9, v5
	v_mad_u64_u32 v[10:11], s[26:27], v8, v5, 0
	v_add3_u32 v11, v11, v2, v1
.LBB6_695:                              ;   in Loop: Header=BB6_672 Depth=2
	s_or_b64 exec, exec, s[78:79]
	v_cmp_eq_u32_e32 vcc, 0, v0
	v_mov_b32_e32 v0, 0xd0
	v_cndmask_b32_e32 v2, v0, v24, vcc
	v_add_co_u32_e32 v0, vcc, v48, v10
	v_addc_co_u32_e32 v1, vcc, v49, v11, vcc
	v_add_u32_e32 v2, v0, v2
	ds_write_b64 v2, v[0:1] offset:584
	v_and_b32_e32 v0, 0x2000, v45
	v_cmp_ne_u32_e32 vcc, 0, v0
	s_and_saveexec_b64 s[28:29], vcc
	s_cbranch_execz .LBB6_697
; %bb.696:                              ;   in Loop: Header=BB6_672 Depth=2
	ds_read_b64 v[0:1], v0 offset:872
	s_waitcnt lgkmcnt(0)
	v_add_co_u32_e32 v0, vcc, 1, v0
	v_addc_co_u32_e32 v1, vcc, 0, v1, vcc
	ds_write_b64 v0, v[0:1] offset:872
.LBB6_697:                              ;   in Loop: Header=BB6_672 Depth=2
	s_or_b64 exec, exec, s[28:29]
	v_mov_b32_e32 v16, v4
	v_mov_b32_e32 v15, v3
.LBB6_698:                              ;   in Loop: Header=BB6_672 Depth=2
	s_or_b64 exec, exec, s[76:77]
	s_xor_b64 s[26:27], s[74:75], -1
	s_and_b64 s[26:27], exec, s[26:27]
	s_or_b64 s[42:43], s[26:27], s[42:43]
	s_and_saveexec_b64 s[28:29], s[10:11]
	s_cbranch_execz .LBB6_717
; %bb.699:                              ;   in Loop: Header=BB6_672 Depth=2
	s_and_saveexec_b64 s[26:27], s[56:57]
	s_xor_b64 s[74:75], exec, s[26:27]
	s_cbranch_execz .LBB6_714
; %bb.700:                              ;   in Loop: Header=BB6_672 Depth=2
	s_and_saveexec_b64 s[76:77], s[16:17]
	s_cbranch_execz .LBB6_713
; %bb.701:                              ;   in Loop: Header=BB6_672 Depth=2
	s_mov_b64 s[88:89], exec
	v_mbcnt_lo_u32_b32 v0, s88, 0
	v_mbcnt_hi_u32_b32 v0, s89, v0
	v_cmp_eq_u32_e32 vcc, 0, v0
	s_waitcnt vmcnt(0) lgkmcnt(0)
	buffer_wbinvl1_vol
	s_and_saveexec_b64 s[78:79], vcc
	s_cbranch_execz .LBB6_703
; %bb.702:                              ;   in Loop: Header=BB6_672 Depth=2
	s_bcnt1_i32_b64 s26, s[88:89]
	v_mov_b32_e32 v0, s26
	v_mov_b32_e32 v1, v51
	ds_add_u64 v0, v[0:1]
	s_trap 2
.LBB6_703:                              ;   in Loop: Header=BB6_672 Depth=2
	s_or_b64 exec, exec, s[78:79]
	s_trap 2
	ds_read_b64 v[0:1], v0
	s_waitcnt lgkmcnt(0)
	v_add_co_u32_e32 v56, vcc, v56, v53
	v_addc_co_u32_e32 v57, vcc, 0, v57, vcc
	v_cmp_lt_u64_e32 vcc, v[0:1], v[56:57]
	s_and_saveexec_b64 s[78:79], vcc
	s_cbranch_execz .LBB6_712
; %bb.704:                              ;   in Loop: Header=BB6_672 Depth=2
	s_mov_b32 s26, 0
	s_mov_b64 s[88:89], 0
                                        ; implicit-def: $sgpr90_sgpr91
                                        ; implicit-def: $sgpr92_sgpr93
	s_branch .LBB6_706
.LBB6_705:                              ;   in Loop: Header=BB6_706 Depth=3
	s_or_b64 exec, exec, s[30:31]
	s_and_b64 s[94:95], exec, vcc
	s_or_b64 s[88:89], s[94:95], s[88:89]
	s_andn2_b64 s[90:91], s[90:91], exec
	s_and_b64 s[94:95], s[92:93], exec
	s_or_b64 s[90:91], s[90:91], s[94:95]
	s_andn2_b64 exec, exec, s[88:89]
	s_cbranch_execz .LBB6_710
.LBB6_706:                              ;   Parent Loop BB6_47 Depth=1
                                        ;     Parent Loop BB6_672 Depth=2
                                        ; =>    This Inner Loop Header: Depth=3
	s_add_i32 s26, s26, 1
	s_cmpk_lg_i32 s26, 0x2710
	s_cselect_b64 s[94:95], -1, 0
	s_and_b64 vcc, exec, s[94:95]
	s_cbranch_vccz .LBB6_708
; %bb.707:                              ;   in Loop: Header=BB6_706 Depth=3
	s_mov_b64 vcc, -1
	s_or_b64 s[92:93], s[92:93], exec
	s_and_saveexec_b64 s[30:31], s[94:95]
	s_cbranch_execz .LBB6_705
	s_branch .LBB6_709
.LBB6_708:                              ;   in Loop: Header=BB6_706 Depth=3
	s_trap 2
	ds_read_b64 v[0:1], v0
	s_andn2_b64 s[94:95], s[94:95], exec
	s_mov_b32 s26, 0
	s_waitcnt lgkmcnt(0)
	flat_load_dword v0, v[0:1] glc
	s_waitcnt vmcnt(0) lgkmcnt(0)
	buffer_wbinvl1_vol
	v_cmp_eq_u32_e32 vcc, 0, v0
	s_and_b64 vcc, vcc, exec
	s_or_b64 s[94:95], s[94:95], vcc
	s_mov_b64 vcc, -1
	s_or_b64 s[92:93], s[92:93], exec
	s_and_saveexec_b64 s[30:31], s[94:95]
	s_cbranch_execz .LBB6_705
.LBB6_709:                              ;   in Loop: Header=BB6_706 Depth=3
	s_sleep 1
	s_trap 2
	ds_read_b64 v[0:1], v0
	s_waitcnt lgkmcnt(0)
	s_andn2_b64 s[92:93], s[92:93], exec
	v_cmp_ge_u64_e32 vcc, v[0:1], v[56:57]
	s_orn2_b64 vcc, vcc, exec
	s_branch .LBB6_705
.LBB6_710:                              ;   in Loop: Header=BB6_672 Depth=2
	s_or_b64 exec, exec, s[88:89]
	s_and_saveexec_b64 s[26:27], s[90:91]
	s_xor_b64 s[26:27], exec, s[26:27]
	s_cbranch_execz .LBB6_712
; %bb.711:                              ;   in Loop: Header=BB6_672 Depth=2
	ds_write_b32 v0, v54
	s_trap 2
.LBB6_712:                              ;   in Loop: Header=BB6_672 Depth=2
	s_or_b64 exec, exec, s[78:79]
	;;#ASMSTART
	s_wakeup
	;;#ASMEND
.LBB6_713:                              ;   in Loop: Header=BB6_672 Depth=2
	s_or_b64 exec, exec, s[76:77]
.LBB6_714:                              ;   in Loop: Header=BB6_672 Depth=2
	s_andn2_saveexec_b64 s[74:75], s[74:75]
	s_cbranch_execz .LBB6_716
; %bb.715:                              ;   in Loop: Header=BB6_672 Depth=2
	s_waitcnt vmcnt(0) lgkmcnt(0)
	buffer_wbinvl1_vol
	s_barrier
.LBB6_716:                              ;   in Loop: Header=BB6_672 Depth=2
	s_or_b64 exec, exec, s[74:75]
.LBB6_717:                              ;   in Loop: Header=BB6_672 Depth=2
	s_or_b64 exec, exec, s[28:29]
                                        ; implicit-def: $vgpr0
	s_and_saveexec_b64 s[26:27], s[24:25]
	s_xor_b64 s[28:29], exec, s[26:27]
	s_cbranch_execz .LBB6_721
; %bb.718:                              ;   in Loop: Header=BB6_672 Depth=2
	s_trap 2
	ds_read_b32 v0, v0
	v_cmp_lt_i32_e32 vcc, 0, v46
	v_and_b32_e32 v1, 16, v45
	s_waitcnt lgkmcnt(0)
	v_readfirstlane_b32 s26, v0
	s_cmp_eq_u32 s26, 0
	s_cselect_b64 s[26:27], -1, 0
	s_and_b64 s[26:27], vcc, s[26:27]
	v_cmp_ne_u32_e32 vcc, 0, v1
	v_and_b32_e32 v0, 16, v45
	s_and_b64 s[26:27], vcc, s[26:27]
	s_and_saveexec_b64 s[74:75], s[26:27]
	s_cbranch_execz .LBB6_720
; %bb.719:                              ;   in Loop: Header=BB6_672 Depth=2
	v_mov_b32_e32 v0, 1
	s_waitcnt vmcnt(0)
	buffer_wbinvl1_vol
.LBB6_720:                              ;   in Loop: Header=BB6_672 Depth=2
	s_or_b64 exec, exec, s[74:75]
	s_andn2_saveexec_b64 s[28:29], s[28:29]
	s_cbranch_execz .LBB6_740
	s_branch .LBB6_722
.LBB6_721:                              ;   in Loop: Header=BB6_672 Depth=2
	s_andn2_saveexec_b64 s[28:29], s[28:29]
	s_cbranch_execz .LBB6_740
.LBB6_722:                              ;   in Loop: Header=BB6_672 Depth=2
	s_and_saveexec_b64 s[26:27], s[56:57]
	s_xor_b64 s[74:75], exec, s[26:27]
	s_cbranch_execz .LBB6_737
; %bb.723:                              ;   in Loop: Header=BB6_672 Depth=2
	s_and_saveexec_b64 s[76:77], s[16:17]
	s_cbranch_execz .LBB6_736
; %bb.724:                              ;   in Loop: Header=BB6_672 Depth=2
	s_mov_b64 s[88:89], exec
	v_mbcnt_lo_u32_b32 v0, s88, 0
	v_mbcnt_hi_u32_b32 v0, s89, v0
	v_cmp_eq_u32_e32 vcc, 0, v0
	;;#ASMSTART
	s_waitcnt lgkmcnt(0) vmcnt(0)
	;;#ASMEND
	s_and_saveexec_b64 s[78:79], vcc
	s_cbranch_execz .LBB6_726
; %bb.725:                              ;   in Loop: Header=BB6_672 Depth=2
	s_bcnt1_i32_b64 s26, s[88:89]
	v_mov_b32_e32 v0, s26
	v_mov_b32_e32 v1, v51
	s_waitcnt lgkmcnt(0)
	ds_add_u64 v0, v[0:1]
	s_trap 2
.LBB6_726:                              ;   in Loop: Header=BB6_672 Depth=2
	s_or_b64 exec, exec, s[78:79]
	s_trap 2
	ds_read_b64 v[0:1], v0
	s_waitcnt lgkmcnt(0)
	v_add_co_u32_e32 v56, vcc, v56, v53
	v_addc_co_u32_e32 v57, vcc, 0, v57, vcc
	v_cmp_lt_u64_e32 vcc, v[0:1], v[56:57]
	s_and_saveexec_b64 s[78:79], vcc
	s_cbranch_execz .LBB6_735
; %bb.727:                              ;   in Loop: Header=BB6_672 Depth=2
	s_mov_b32 s26, 0
	s_mov_b64 s[88:89], 0
                                        ; implicit-def: $sgpr90_sgpr91
                                        ; implicit-def: $sgpr92_sgpr93
	s_branch .LBB6_729
.LBB6_728:                              ;   in Loop: Header=BB6_729 Depth=3
	s_or_b64 exec, exec, s[30:31]
	s_and_b64 s[94:95], exec, vcc
	s_or_b64 s[88:89], s[94:95], s[88:89]
	s_andn2_b64 s[90:91], s[90:91], exec
	s_and_b64 s[94:95], s[92:93], exec
	s_or_b64 s[90:91], s[90:91], s[94:95]
	s_andn2_b64 exec, exec, s[88:89]
	s_cbranch_execz .LBB6_733
.LBB6_729:                              ;   Parent Loop BB6_47 Depth=1
                                        ;     Parent Loop BB6_672 Depth=2
                                        ; =>    This Inner Loop Header: Depth=3
	s_add_i32 s26, s26, 1
	s_cmpk_lg_i32 s26, 0x2710
	s_cselect_b64 s[94:95], -1, 0
	s_and_b64 vcc, exec, s[94:95]
	s_cbranch_vccz .LBB6_731
; %bb.730:                              ;   in Loop: Header=BB6_729 Depth=3
	s_mov_b64 vcc, -1
	s_or_b64 s[92:93], s[92:93], exec
	s_and_saveexec_b64 s[30:31], s[94:95]
	s_cbranch_execz .LBB6_728
	s_branch .LBB6_732
.LBB6_731:                              ;   in Loop: Header=BB6_729 Depth=3
	s_trap 2
	ds_read_b64 v[0:1], v0
	s_andn2_b64 s[94:95], s[94:95], exec
	s_mov_b32 s26, 0
	s_waitcnt vmcnt(0) lgkmcnt(0)
	flat_load_dword v0, v[0:1] glc
	s_waitcnt vmcnt(0) lgkmcnt(0)
	buffer_wbinvl1_vol
	v_cmp_eq_u32_e32 vcc, 0, v0
	s_and_b64 vcc, vcc, exec
	s_or_b64 s[94:95], s[94:95], vcc
	s_mov_b64 vcc, -1
	s_or_b64 s[92:93], s[92:93], exec
	s_and_saveexec_b64 s[30:31], s[94:95]
	s_cbranch_execz .LBB6_728
.LBB6_732:                              ;   in Loop: Header=BB6_729 Depth=3
	s_sleep 1
	s_trap 2
	ds_read_b64 v[0:1], v0
	s_waitcnt lgkmcnt(0)
	s_andn2_b64 s[92:93], s[92:93], exec
	v_cmp_ge_u64_e32 vcc, v[0:1], v[56:57]
	s_orn2_b64 vcc, vcc, exec
	s_branch .LBB6_728
.LBB6_733:                              ;   in Loop: Header=BB6_672 Depth=2
	s_or_b64 exec, exec, s[88:89]
	s_and_saveexec_b64 s[26:27], s[90:91]
	s_xor_b64 s[26:27], exec, s[26:27]
	s_cbranch_execz .LBB6_735
; %bb.734:                              ;   in Loop: Header=BB6_672 Depth=2
	ds_write_b32 v0, v54
	s_trap 2
.LBB6_735:                              ;   in Loop: Header=BB6_672 Depth=2
	s_or_b64 exec, exec, s[78:79]
	;;#ASMSTART
	s_wakeup
	;;#ASMEND
.LBB6_736:                              ;   in Loop: Header=BB6_672 Depth=2
	s_or_b64 exec, exec, s[76:77]
.LBB6_737:                              ;   in Loop: Header=BB6_672 Depth=2
	s_andn2_saveexec_b64 s[74:75], s[74:75]
	s_cbranch_execz .LBB6_739
; %bb.738:                              ;   in Loop: Header=BB6_672 Depth=2
	;;#ASMSTART
	s_waitcnt lgkmcnt(0) vmcnt(0)
	;;#ASMEND
	s_waitcnt vmcnt(0) lgkmcnt(0)
	s_barrier
.LBB6_739:                              ;   in Loop: Header=BB6_672 Depth=2
	s_or_b64 exec, exec, s[74:75]
	v_and_b32_e32 v0, 16, v45
.LBB6_740:                              ;   in Loop: Header=BB6_672 Depth=2
	s_or_b64 exec, exec, s[28:29]
	v_cmp_ne_u32_e32 vcc, 0, v0
	s_xor_b64 s[26:27], s[12:13], -1
	s_and_b64 s[26:27], vcc, s[26:27]
	s_and_saveexec_b64 s[28:29], s[26:27]
	s_cbranch_execz .LBB6_742
; %bb.741:                              ;   in Loop: Header=BB6_672 Depth=2
	flat_store_dword v[40:41], v54
.LBB6_742:                              ;   in Loop: Header=BB6_672 Depth=2
	s_or_b64 exec, exec, s[28:29]
	v_and_b32_e32 v0, 48, v45
	v_cmp_ne_u32_e32 vcc, 0, v0
	s_and_saveexec_b64 s[28:29], vcc
	s_cbranch_execz .LBB6_671
; %bb.743:                              ;   in Loop: Header=BB6_672 Depth=2
	s_waitcnt vmcnt(0)
	v_add_co_u32_e32 v15, vcc, 2, v15
	v_addc_co_u32_e32 v16, vcc, 0, v16, vcc
	flat_store_dwordx2 v[42:43], v[15:16]
	s_branch .LBB6_671
.LBB6_744:                              ;   in Loop: Header=BB6_47 Depth=1
	s_or_b64 exec, exec, s[42:43]
.LBB6_745:                              ;   in Loop: Header=BB6_47 Depth=1
	s_or_b64 exec, exec, s[40:41]
	v_readlane_b32 s26, v62, 21
	v_readlane_b32 s27, v62, 22
	s_and_b64 vcc, exec, s[26:27]
	s_cbranch_vccnz .LBB6_1002
; %bb.746:                              ;   in Loop: Header=BB6_47 Depth=1
	s_mov_b32 s48, 1
.LBB6_747:                              ;   Parent Loop BB6_47 Depth=1
                                        ; =>  This Loop Header: Depth=2
                                        ;       Child Loop BB6_750 Depth 3
                                        ;         Child Loop BB6_758 Depth 4
                                        ;         Child Loop BB6_786 Depth 4
	;; [unrolled: 1-line block ×9, first 2 shown]
                                        ;           Child Loop BB6_840 Depth 5
                                        ;         Child Loop BB6_847 Depth 4
                                        ;         Child Loop BB6_852 Depth 4
                                        ;           Child Loop BB6_853 Depth 5
                                        ;         Child Loop BB6_889 Depth 4
                                        ;         Child Loop BB6_908 Depth 4
                                        ;       Child Loop BB6_927 Depth 3
                                        ;         Child Loop BB6_933 Depth 4
                                        ;         Child Loop BB6_961 Depth 4
	;; [unrolled: 1-line block ×3, first 2 shown]
	buffer_load_dword v2, off, s[0:3], s33 offset:352 ; 4-byte Folded Reload
	buffer_load_dword v3, off, s[0:3], s33 offset:356 ; 4-byte Folded Reload
	v_readlane_b32 s26, v62, 13
	s_sub_i32 s26, s26, s48
	s_cmp_ge_i32 s26, s50
	s_cselect_b32 s27, s50, 0
	s_sub_i32 s26, s26, s27
	s_ashr_i32 s28, s26, 31
	v_mov_b32_e32 v19, 0
	s_waitcnt vmcnt(0)
	v_mul_lo_u32 v1, v2, s28
	v_mul_lo_u32 v0, v3, s26
	v_mad_u64_u32 v[4:5], s[26:27], v2, s26, 0
	v_add3_u32 v5, v5, v1, v0
	buffer_load_dword v0, off, s[0:3], s33 offset:344 ; 4-byte Folded Reload
	buffer_load_dword v1, off, s[0:3], s33 offset:348 ; 4-byte Folded Reload
	s_waitcnt vmcnt(0)
	v_sub_co_u32_e32 v0, vcc, v0, v4
	v_subb_co_u32_e32 v1, vcc, v1, v5, vcc
	v_cmp_lt_i64_e32 vcc, v[2:3], v[0:1]
	v_cndmask_b32_e32 v0, v0, v2, vcc
	v_max_i32_e32 v18, 0, v0
	v_add_u32_e32 v1, 31, v18
	v_lshrrev_b32_e32 v1, 1, v1
	v_and_b32_e32 v1, 0x3ffffff0, v1
	v_cmp_lt_i32_e32 vcc, 0, v0
	v_max_i32_e32 v3, s98, v1
	s_and_b64 s[26:27], s[72:73], vcc
	v_mov_b32_e32 v0, 0
	s_and_saveexec_b64 s[42:43], s[26:27]
	s_cbranch_execz .LBB6_924
; %bb.748:                              ;   in Loop: Header=BB6_747 Depth=2
	buffer_load_dword v0, off, s[0:3], s33 offset:176 ; 4-byte Folded Reload
	s_mov_b32 s49, 1
	s_mov_b64 s[76:77], -1
	v_mov_b32_e32 v19, 0
	s_mov_b64 s[74:75], 0
	s_waitcnt vmcnt(0)
	v_add_co_u32_e32 v61, vcc, v4, v0
	buffer_load_dword v0, off, s[0:3], s33 offset:180 ; 4-byte Folded Reload
	s_waitcnt vmcnt(0)
	v_addc_co_u32_e32 v20, vcc, v5, v0, vcc
	s_branch .LBB6_750
.LBB6_749:                              ;   in Loop: Header=BB6_750 Depth=3
	s_or_b64 exec, exec, s[26:27]
	v_add_u32_e32 v19, v3, v19
	v_cmp_ge_i32_e32 vcc, v19, v18
	s_xor_b64 s[26:27], s[76:77], -1
	s_or_b64 s[26:27], s[26:27], vcc
	s_and_b64 s[26:27], exec, s[26:27]
	s_or_b64 s[74:75], s[26:27], s[74:75]
	s_mov_b64 s[76:77], 0
	v_mov_b32_e32 v0, s49
	s_mov_b32 s49, 2
	s_andn2_b64 exec, exec, s[74:75]
	s_cbranch_execz .LBB6_923
.LBB6_750:                              ;   Parent Loop BB6_47 Depth=1
                                        ;     Parent Loop BB6_747 Depth=2
                                        ; =>    This Loop Header: Depth=3
                                        ;         Child Loop BB6_758 Depth 4
                                        ;         Child Loop BB6_786 Depth 4
                                        ;         Child Loop BB6_805 Depth 4
                                        ;         Child Loop BB6_864 Depth 4
                                        ;         Child Loop BB6_869 Depth 4
                                        ;         Child Loop BB6_875 Depth 4
                                        ;         Child Loop BB6_880 Depth 4
                                        ;         Child Loop BB6_834 Depth 4
                                        ;         Child Loop BB6_839 Depth 4
                                        ;           Child Loop BB6_840 Depth 5
                                        ;         Child Loop BB6_847 Depth 4
                                        ;         Child Loop BB6_852 Depth 4
                                        ;           Child Loop BB6_853 Depth 5
                                        ;         Child Loop BB6_889 Depth 4
                                        ;         Child Loop BB6_908 Depth 4
	s_and_saveexec_b64 s[26:27], s[4:5]
	s_cbranch_execz .LBB6_752
; %bb.751:                              ;   in Loop: Header=BB6_750 Depth=3
	s_trap 2
	ds_read_b128 v[8:11], v0
	v_ashrrev_i32_e32 v2, 31, v19
	s_waitcnt lgkmcnt(0)
	v_add_co_u32_e32 v0, vcc, v8, v61
	v_addc_co_u32_e32 v1, vcc, v9, v20, vcc
	v_add_co_u32_e32 v0, vcc, v0, v19
	v_addc_co_u32_e32 v1, vcc, v1, v2, vcc
	ds_write_b64 v0, v[0:1]
	v_add_co_u32_e32 v0, vcc, v10, v61
	v_addc_co_u32_e32 v1, vcc, v11, v20, vcc
	v_add_co_u32_e32 v0, vcc, v0, v19
	v_addc_co_u32_e32 v1, vcc, v1, v2, vcc
	v_cmp_ne_u64_e32 vcc, 0, v[10:11]
	v_cndmask_b32_e32 v1, 0, v1, vcc
	v_cndmask_b32_e32 v0, 0, v0, vcc
	ds_write_b64 v0, v[0:1]
.LBB6_752:                              ;   in Loop: Header=BB6_750 Depth=3
	s_or_b64 exec, exec, s[26:27]
	v_sub_u32_e32 v0, v18, v19
	v_min_i32_e32 v3, v3, v0
	v_and_b32_e32 v0, 12, v45
	v_cmp_ne_u32_e32 vcc, 0, v0
	s_and_saveexec_b64 s[28:29], vcc
	s_cbranch_execz .LBB6_778
; %bb.753:                              ;   in Loop: Header=BB6_750 Depth=3
	v_and_b32_e32 v0, 8, v45
	s_waitcnt vmcnt(0) lgkmcnt(0)
	v_add_co_u32_e32 v1, vcc, v37, v0
	v_addc_co_u32_e32 v2, vcc, 0, v38, vcc
	v_add_co_u32_e32 v8, vcc, 2, v15
	v_addc_co_u32_e32 v9, vcc, 0, v16, vcc
	v_cmp_lt_u64_e32 vcc, v[1:2], v[8:9]
	s_and_saveexec_b64 s[40:41], vcc
	s_cbranch_execz .LBB6_765
; %bb.754:                              ;   in Loop: Header=BB6_750 Depth=3
	v_and_b32_e32 v1, 64, v45
	s_mov_b32 s87, 0
	v_cmp_eq_u32_e32 vcc, 0, v1
	s_mov_b64 s[78:79], 0
                                        ; implicit-def: $sgpr88_sgpr89
                                        ; implicit-def: $sgpr90_sgpr91
                                        ; implicit-def: $sgpr92_sgpr93
	s_branch .LBB6_758
.LBB6_755:                              ;   in Loop: Header=BB6_758 Depth=4
	s_waitcnt vmcnt(0) lgkmcnt(0)
	v_add_co_u32_e64 v4, s[26:27], v37, v0
	v_addc_co_u32_e64 v5, s[26:27], 0, v38, s[26:27]
	v_cmp_ge_u64_e64 s[26:27], v[4:5], v[8:9]
	s_or_b64 s[34:35], s[34:35], exec
	s_orn2_b64 s[30:31], s[26:27], exec
.LBB6_756:                              ;   in Loop: Header=BB6_758 Depth=4
	s_or_b64 exec, exec, s[38:39]
	s_andn2_b64 s[26:27], s[92:93], exec
	s_and_b64 s[92:93], s[34:35], exec
	s_or_b64 s[92:93], s[26:27], s[92:93]
	s_andn2_b64 s[26:27], s[90:91], exec
	s_and_b64 s[90:91], s[30:31], exec
	s_or_b64 s[90:91], s[26:27], s[90:91]
.LBB6_757:                              ;   in Loop: Header=BB6_758 Depth=4
	s_or_b64 exec, exec, s[94:95]
	s_and_b64 s[26:27], exec, s[90:91]
	s_or_b64 s[78:79], s[26:27], s[78:79]
	s_andn2_b64 s[26:27], s[88:89], exec
	s_and_b64 s[88:89], s[92:93], exec
	s_or_b64 s[88:89], s[26:27], s[88:89]
	s_andn2_b64 exec, exec, s[78:79]
	s_cbranch_execz .LBB6_762
.LBB6_758:                              ;   Parent Loop BB6_47 Depth=1
                                        ;     Parent Loop BB6_747 Depth=2
                                        ;       Parent Loop BB6_750 Depth=3
                                        ; =>      This Inner Loop Header: Depth=4
	s_sleep 1
	s_waitcnt vmcnt(0) lgkmcnt(0)
	flat_load_dwordx2 v[37:38], v[42:43] glc
	s_or_b64 s[92:93], s[92:93], exec
	s_or_b64 s[90:91], s[90:91], exec
                                        ; implicit-def: $vgpr1
	s_and_saveexec_b64 s[94:95], vcc
	s_cbranch_execz .LBB6_757
; %bb.759:                              ;   in Loop: Header=BB6_758 Depth=4
	s_cmpk_lt_i32 s87, 0x270f
	s_cselect_b64 s[36:37], -1, 0
	s_cmpk_gt_i32 s87, 0x270e
	s_mov_b64 s[30:31], -1
	s_cbranch_scc0 .LBB6_761
; %bb.760:                              ;   in Loop: Header=BB6_758 Depth=4
	s_trap 2
	ds_read_b64 v[1:2], v0
	s_andn2_b64 s[36:37], s[36:37], exec
	s_mov_b32 s87, 0
	s_mov_b64 s[34:35], 0
	s_waitcnt vmcnt(0) lgkmcnt(0)
	flat_load_dword v1, v[1:2] glc
	s_waitcnt vmcnt(0) lgkmcnt(0)
	buffer_wbinvl1_vol
	v_cmp_eq_u32_e64 s[26:27], 0, v1
	s_and_b64 s[26:27], s[26:27], exec
	s_or_b64 s[36:37], s[36:37], s[26:27]
	s_and_saveexec_b64 s[38:39], s[36:37]
	s_cbranch_execz .LBB6_756
	s_branch .LBB6_755
.LBB6_761:                              ;   in Loop: Header=BB6_758 Depth=4
	s_add_i32 s87, s87, 1
	s_mov_b64 s[34:35], -1
                                        ; implicit-def: $vgpr1
	s_and_saveexec_b64 s[38:39], s[36:37]
	s_cbranch_execz .LBB6_756
	s_branch .LBB6_755
.LBB6_762:                              ;   in Loop: Header=BB6_750 Depth=3
	s_or_b64 exec, exec, s[78:79]
	s_xor_b64 s[26:27], s[88:89], -1
	s_and_saveexec_b64 s[78:79], s[26:27]
	s_xor_b64 s[26:27], exec, s[78:79]
	s_cbranch_execz .LBB6_764
; %bb.763:                              ;   in Loop: Header=BB6_750 Depth=3
	v_or_b32_e32 v45, 64, v45
	s_waitcnt lgkmcnt(0)
	ds_write_b32 v0, v1
	s_trap 2
.LBB6_764:                              ;   in Loop: Header=BB6_750 Depth=3
	s_or_b64 exec, exec, s[26:27]
.LBB6_765:                              ;   in Loop: Header=BB6_750 Depth=3
	s_or_b64 exec, exec, s[40:41]
	v_and_b32_e32 v1, 0x108, v45
	v_cmp_ne_u32_e32 vcc, s55, v1
	;;#ASMSTART
	s_wakeup
	;;#ASMEND
                                        ; implicit-def: $vgpr10_vgpr11
	s_and_saveexec_b64 s[26:27], vcc
	s_xor_b64 s[26:27], exec, s[26:27]
; %bb.766:                              ;   in Loop: Header=BB6_750 Depth=3
	v_and_b32_e32 v10, 7, v15
	v_mov_b32_e32 v11, v51
                                        ; implicit-def: $vgpr15_vgpr16
; %bb.767:                              ;   in Loop: Header=BB6_750 Depth=3
	s_andn2_saveexec_b64 s[26:27], s[26:27]
	s_cbranch_execz .LBB6_769
; %bb.768:                              ;   in Loop: Header=BB6_750 Depth=3
	buffer_load_dword v4, off, s[0:3], s33 offset:120 ; 4-byte Folded Reload
	buffer_load_dword v5, off, s[0:3], s33 offset:124 ; 4-byte Folded Reload
	;; [unrolled: 1-line block ×4, first 2 shown]
	v_and_b32_e32 v10, 7, v15
	v_mov_b32_e32 v11, v51
	s_waitcnt vmcnt(0)
	v_mad_u64_u32 v[1:2], s[40:41], v10, 24, v[4:5]
	v_ashrrev_i32_e32 v4, 31, v3
	flat_store_dwordx2 v[1:2], v[3:4] offset:8
.LBB6_769:                              ;   in Loop: Header=BB6_750 Depth=3
	s_or_b64 exec, exec, s[26:27]
	v_and_b32_e32 v1, 0x100, v45
	v_cmp_ne_u32_e32 vcc, 0, v1
	s_mov_b64 s[26:27], -1
                                        ; implicit-def: $vgpr4_vgpr5
	s_and_saveexec_b64 s[40:41], vcc
	s_cbranch_execz .LBB6_773
; %bb.770:                              ;   in Loop: Header=BB6_750 Depth=3
	buffer_load_dword v4, off, s[0:3], s33 offset:120 ; 4-byte Folded Reload
	buffer_load_dword v5, off, s[0:3], s33 offset:124 ; 4-byte Folded Reload
	buffer_load_dword v6, off, s[0:3], s33 offset:128 ; 4-byte Folded Reload
	buffer_load_dword v7, off, s[0:3], s33 offset:132 ; 4-byte Folded Reload
	s_waitcnt vmcnt(0)
	v_mad_u64_u32 v[12:13], s[26:27], v10, 24, v[4:5]
                                        ; implicit-def: $vgpr4_vgpr5
	v_mov_b32_e32 v1, v13
	v_mad_u64_u32 v[1:2], s[26:27], v11, 24, v[1:2]
	v_mov_b32_e32 v13, v1
	flat_load_dword v1, v[12:13]
	s_waitcnt vmcnt(0) lgkmcnt(0)
	v_cmp_ne_u32_e32 vcc, 1, v1
	v_cmp_eq_u32_e64 s[26:27], 1, v1
	s_and_saveexec_b64 s[78:79], s[26:27]
	s_cbranch_execz .LBB6_772
; %bb.771:                              ;   in Loop: Header=BB6_750 Depth=3
	flat_load_dword v4, v[12:13] offset:4 glc
	s_waitcnt vmcnt(0) lgkmcnt(0)
	v_ashrrev_i32_e32 v5, 31, v4
.LBB6_772:                              ;   in Loop: Header=BB6_750 Depth=3
	s_or_b64 exec, exec, s[78:79]
	s_orn2_b64 s[26:27], vcc, exec
.LBB6_773:                              ;   in Loop: Header=BB6_750 Depth=3
	s_or_b64 exec, exec, s[40:41]
	s_and_saveexec_b64 s[40:41], s[26:27]
	s_cbranch_execz .LBB6_775
; %bb.774:                              ;   in Loop: Header=BB6_750 Depth=3
	buffer_load_dword v4, off, s[0:3], s33 offset:144 ; 4-byte Folded Reload
	v_mul_lo_u32 v2, v10, v39
	s_waitcnt vmcnt(0)
	v_mul_lo_u32 v1, v11, v4
	v_mad_u64_u32 v[4:5], s[26:27], v10, v4, 0
	v_add3_u32 v5, v5, v2, v1
.LBB6_775:                              ;   in Loop: Header=BB6_750 Depth=3
	s_or_b64 exec, exec, s[40:41]
	v_cmp_eq_u32_e32 vcc, 0, v0
	v_mov_b32_e32 v0, 0xd0
	v_mov_b32_e32 v1, 0x88
	v_cndmask_b32_e32 v2, v0, v1, vcc
	v_add_co_u32_e32 v0, vcc, v48, v4
	v_addc_co_u32_e32 v1, vcc, v49, v5, vcc
	v_add_u32_e32 v2, v0, v2
	ds_write_b64 v2, v[0:1] offset:584
	v_and_b32_e32 v0, 0x2000, v45
	v_cmp_ne_u32_e32 vcc, 0, v0
	s_and_saveexec_b64 s[26:27], vcc
	s_cbranch_execz .LBB6_777
; %bb.776:                              ;   in Loop: Header=BB6_750 Depth=3
	ds_read_b64 v[0:1], v0 offset:872
	s_waitcnt lgkmcnt(0)
	v_add_co_u32_e32 v0, vcc, 1, v0
	v_addc_co_u32_e32 v1, vcc, 0, v1, vcc
	ds_write_b64 v0, v[0:1] offset:872
.LBB6_777:                              ;   in Loop: Header=BB6_750 Depth=3
	s_or_b64 exec, exec, s[26:27]
	v_mov_b32_e32 v16, v9
	v_mov_b32_e32 v15, v8
.LBB6_778:                              ;   in Loop: Header=BB6_750 Depth=3
	s_or_b64 exec, exec, s[28:29]
	s_and_saveexec_b64 s[26:27], s[10:11]
	s_cbranch_execz .LBB6_797
; %bb.779:                              ;   in Loop: Header=BB6_750 Depth=3
	s_and_saveexec_b64 s[28:29], s[56:57]
	s_xor_b64 s[28:29], exec, s[28:29]
	s_cbranch_execz .LBB6_794
; %bb.780:                              ;   in Loop: Header=BB6_750 Depth=3
	s_and_saveexec_b64 s[40:41], s[16:17]
	s_cbranch_execz .LBB6_793
; %bb.781:                              ;   in Loop: Header=BB6_750 Depth=3
	s_mov_b64 s[88:89], exec
	v_mbcnt_lo_u32_b32 v0, s88, 0
	v_mbcnt_hi_u32_b32 v0, s89, v0
	v_cmp_eq_u32_e32 vcc, 0, v0
	s_waitcnt vmcnt(0) lgkmcnt(0)
	buffer_wbinvl1_vol
	s_and_saveexec_b64 s[78:79], vcc
	s_cbranch_execz .LBB6_783
; %bb.782:                              ;   in Loop: Header=BB6_750 Depth=3
	s_bcnt1_i32_b64 s88, s[88:89]
	v_mov_b32_e32 v0, s88
	v_mov_b32_e32 v1, v51
	ds_add_u64 v0, v[0:1]
	s_trap 2
.LBB6_783:                              ;   in Loop: Header=BB6_750 Depth=3
	s_or_b64 exec, exec, s[78:79]
	s_trap 2
	ds_read_b64 v[0:1], v0
	s_waitcnt lgkmcnt(0)
	v_add_co_u32_e32 v56, vcc, v56, v53
	v_addc_co_u32_e32 v57, vcc, 0, v57, vcc
	v_cmp_lt_u64_e32 vcc, v[0:1], v[56:57]
	s_and_saveexec_b64 s[78:79], vcc
	s_cbranch_execz .LBB6_792
; %bb.784:                              ;   in Loop: Header=BB6_750 Depth=3
	s_mov_b32 s34, 0
	s_mov_b64 s[88:89], 0
                                        ; implicit-def: $sgpr90_sgpr91
                                        ; implicit-def: $sgpr92_sgpr93
	s_branch .LBB6_786
.LBB6_785:                              ;   in Loop: Header=BB6_786 Depth=4
	s_or_b64 exec, exec, s[30:31]
	s_and_b64 s[94:95], exec, vcc
	s_or_b64 s[88:89], s[94:95], s[88:89]
	s_andn2_b64 s[90:91], s[90:91], exec
	s_and_b64 s[94:95], s[92:93], exec
	s_or_b64 s[90:91], s[90:91], s[94:95]
	s_andn2_b64 exec, exec, s[88:89]
	s_cbranch_execz .LBB6_790
.LBB6_786:                              ;   Parent Loop BB6_47 Depth=1
                                        ;     Parent Loop BB6_747 Depth=2
                                        ;       Parent Loop BB6_750 Depth=3
                                        ; =>      This Inner Loop Header: Depth=4
	s_add_i32 s34, s34, 1
	s_cmpk_lg_i32 s34, 0x2710
	s_cselect_b64 s[94:95], -1, 0
	s_and_b64 vcc, exec, s[94:95]
	s_cbranch_vccz .LBB6_788
; %bb.787:                              ;   in Loop: Header=BB6_786 Depth=4
	s_mov_b64 vcc, -1
	s_or_b64 s[92:93], s[92:93], exec
	s_and_saveexec_b64 s[30:31], s[94:95]
	s_cbranch_execz .LBB6_785
	s_branch .LBB6_789
.LBB6_788:                              ;   in Loop: Header=BB6_786 Depth=4
	s_trap 2
	ds_read_b64 v[0:1], v0
	s_andn2_b64 s[94:95], s[94:95], exec
	s_mov_b32 s34, 0
	s_waitcnt lgkmcnt(0)
	flat_load_dword v0, v[0:1] glc
	s_waitcnt vmcnt(0) lgkmcnt(0)
	buffer_wbinvl1_vol
	v_cmp_eq_u32_e32 vcc, 0, v0
	s_and_b64 vcc, vcc, exec
	s_or_b64 s[94:95], s[94:95], vcc
	s_mov_b64 vcc, -1
	s_or_b64 s[92:93], s[92:93], exec
	s_and_saveexec_b64 s[30:31], s[94:95]
	s_cbranch_execz .LBB6_785
.LBB6_789:                              ;   in Loop: Header=BB6_786 Depth=4
	s_sleep 1
	s_trap 2
	ds_read_b64 v[0:1], v0
	s_waitcnt lgkmcnt(0)
	s_andn2_b64 s[92:93], s[92:93], exec
	v_cmp_ge_u64_e32 vcc, v[0:1], v[56:57]
	s_orn2_b64 vcc, vcc, exec
	s_branch .LBB6_785
.LBB6_790:                              ;   in Loop: Header=BB6_750 Depth=3
	s_or_b64 exec, exec, s[88:89]
	s_and_saveexec_b64 s[88:89], s[90:91]
	s_xor_b64 s[88:89], exec, s[88:89]
	s_cbranch_execz .LBB6_792
; %bb.791:                              ;   in Loop: Header=BB6_750 Depth=3
	ds_write_b32 v0, v54
	s_trap 2
.LBB6_792:                              ;   in Loop: Header=BB6_750 Depth=3
	s_or_b64 exec, exec, s[78:79]
	;;#ASMSTART
	s_wakeup
	;;#ASMEND
.LBB6_793:                              ;   in Loop: Header=BB6_750 Depth=3
	s_or_b64 exec, exec, s[40:41]
.LBB6_794:                              ;   in Loop: Header=BB6_750 Depth=3
	s_andn2_saveexec_b64 s[28:29], s[28:29]
	s_cbranch_execz .LBB6_796
; %bb.795:                              ;   in Loop: Header=BB6_750 Depth=3
	s_waitcnt vmcnt(0) lgkmcnt(0)
	buffer_wbinvl1_vol
	s_barrier
.LBB6_796:                              ;   in Loop: Header=BB6_750 Depth=3
	s_or_b64 exec, exec, s[28:29]
.LBB6_797:                              ;   in Loop: Header=BB6_750 Depth=3
	s_or_b64 exec, exec, s[26:27]
	s_trap 2
	ds_read_b32 v0, v0
	v_and_b32_e32 v1, 0x4000, v45
	v_cmp_ne_u32_e32 vcc, 0, v1
	s_xor_b64 s[26:27], s[6:7], -1
	s_and_b64 s[28:29], s[26:27], vcc
	s_and_saveexec_b64 s[26:27], s[28:29]
	s_cbranch_execz .LBB6_816
; %bb.798:                              ;   in Loop: Header=BB6_750 Depth=3
	s_and_saveexec_b64 s[28:29], s[56:57]
	s_xor_b64 s[28:29], exec, s[28:29]
	s_cbranch_execz .LBB6_813
; %bb.799:                              ;   in Loop: Header=BB6_750 Depth=3
	s_and_saveexec_b64 s[40:41], s[16:17]
	s_cbranch_execz .LBB6_812
; %bb.800:                              ;   in Loop: Header=BB6_750 Depth=3
	s_mov_b64 s[88:89], exec
	v_mbcnt_lo_u32_b32 v1, s88, 0
	v_mbcnt_hi_u32_b32 v1, s89, v1
	v_cmp_eq_u32_e32 vcc, 0, v1
	s_waitcnt vmcnt(0) lgkmcnt(0)
	buffer_wbinvl1_vol
	s_and_saveexec_b64 s[78:79], vcc
	s_cbranch_execz .LBB6_802
; %bb.801:                              ;   in Loop: Header=BB6_750 Depth=3
	s_bcnt1_i32_b64 s88, s[88:89]
	v_mov_b32_e32 v1, s88
	v_mov_b32_e32 v2, v51
	ds_add_u64 v0, v[1:2]
	s_trap 2
.LBB6_802:                              ;   in Loop: Header=BB6_750 Depth=3
	s_or_b64 exec, exec, s[78:79]
	s_trap 2
	ds_read_b64 v[1:2], v0
	s_waitcnt lgkmcnt(0)
	v_add_co_u32_e32 v56, vcc, v56, v53
	v_addc_co_u32_e32 v57, vcc, 0, v57, vcc
	v_cmp_lt_u64_e32 vcc, v[1:2], v[56:57]
	s_and_saveexec_b64 s[78:79], vcc
	s_cbranch_execz .LBB6_811
; %bb.803:                              ;   in Loop: Header=BB6_750 Depth=3
	s_mov_b32 s34, 0
	s_mov_b64 s[88:89], 0
                                        ; implicit-def: $sgpr90_sgpr91
                                        ; implicit-def: $sgpr92_sgpr93
	s_branch .LBB6_805
.LBB6_804:                              ;   in Loop: Header=BB6_805 Depth=4
	s_or_b64 exec, exec, s[30:31]
	s_and_b64 s[94:95], exec, vcc
	s_or_b64 s[88:89], s[94:95], s[88:89]
	s_andn2_b64 s[90:91], s[90:91], exec
	s_and_b64 s[94:95], s[92:93], exec
	s_or_b64 s[90:91], s[90:91], s[94:95]
	s_andn2_b64 exec, exec, s[88:89]
	s_cbranch_execz .LBB6_809
.LBB6_805:                              ;   Parent Loop BB6_47 Depth=1
                                        ;     Parent Loop BB6_747 Depth=2
                                        ;       Parent Loop BB6_750 Depth=3
                                        ; =>      This Inner Loop Header: Depth=4
	s_add_i32 s34, s34, 1
	s_cmpk_lg_i32 s34, 0x2710
	s_cselect_b64 s[94:95], -1, 0
	s_and_b64 vcc, exec, s[94:95]
	s_cbranch_vccz .LBB6_807
; %bb.806:                              ;   in Loop: Header=BB6_805 Depth=4
	s_mov_b64 vcc, -1
	s_or_b64 s[92:93], s[92:93], exec
	s_and_saveexec_b64 s[30:31], s[94:95]
	s_cbranch_execz .LBB6_804
	s_branch .LBB6_808
.LBB6_807:                              ;   in Loop: Header=BB6_805 Depth=4
	s_trap 2
	ds_read_b64 v[1:2], v0
	s_andn2_b64 s[94:95], s[94:95], exec
	s_mov_b32 s34, 0
	s_waitcnt lgkmcnt(0)
	flat_load_dword v1, v[1:2] glc
	s_waitcnt vmcnt(0) lgkmcnt(0)
	buffer_wbinvl1_vol
	v_cmp_eq_u32_e32 vcc, 0, v1
	s_and_b64 vcc, vcc, exec
	s_or_b64 s[94:95], s[94:95], vcc
	s_mov_b64 vcc, -1
	s_or_b64 s[92:93], s[92:93], exec
	s_and_saveexec_b64 s[30:31], s[94:95]
	s_cbranch_execz .LBB6_804
.LBB6_808:                              ;   in Loop: Header=BB6_805 Depth=4
	s_sleep 1
	s_trap 2
	ds_read_b64 v[1:2], v0
	s_waitcnt lgkmcnt(0)
	s_andn2_b64 s[92:93], s[92:93], exec
	v_cmp_ge_u64_e32 vcc, v[1:2], v[56:57]
	s_orn2_b64 vcc, vcc, exec
	s_branch .LBB6_804
.LBB6_809:                              ;   in Loop: Header=BB6_750 Depth=3
	s_or_b64 exec, exec, s[88:89]
	s_and_saveexec_b64 s[88:89], s[90:91]
	s_xor_b64 s[88:89], exec, s[88:89]
	s_cbranch_execz .LBB6_811
; %bb.810:                              ;   in Loop: Header=BB6_750 Depth=3
	ds_write_b32 v0, v54
	s_trap 2
.LBB6_811:                              ;   in Loop: Header=BB6_750 Depth=3
	s_or_b64 exec, exec, s[78:79]
	;;#ASMSTART
	s_wakeup
	;;#ASMEND
.LBB6_812:                              ;   in Loop: Header=BB6_750 Depth=3
	s_or_b64 exec, exec, s[40:41]
.LBB6_813:                              ;   in Loop: Header=BB6_750 Depth=3
	s_andn2_saveexec_b64 s[28:29], s[28:29]
	s_cbranch_execz .LBB6_815
; %bb.814:                              ;   in Loop: Header=BB6_750 Depth=3
	s_waitcnt vmcnt(0) lgkmcnt(0)
	buffer_wbinvl1_vol
	s_barrier
.LBB6_815:                              ;   in Loop: Header=BB6_750 Depth=3
	s_or_b64 exec, exec, s[28:29]
.LBB6_816:                              ;   in Loop: Header=BB6_750 Depth=3
	s_or_b64 exec, exec, s[26:27]
	s_trap 2
	s_waitcnt lgkmcnt(0)
	ds_read_b64 v[4:5], v0
	s_waitcnt lgkmcnt(0)
	v_cmp_eq_u64_e32 vcc, 0, v[4:5]
	s_cbranch_vccnz .LBB6_825
; %bb.817:                              ;   in Loop: Header=BB6_750 Depth=3
	s_trap 2
	ds_read_b64 v[12:13], v0
	s_waitcnt lgkmcnt(0)
	v_cmp_eq_u64_e32 vcc, 0, v[12:13]
	s_cbranch_vccnz .LBB6_825
; %bb.818:                              ;   in Loop: Header=BB6_750 Depth=3
	s_waitcnt vmcnt(0)
	buffer_store_dword v15, off, s[0:3], s33 offset:136 ; 4-byte Folded Spill
	s_nop 0
	buffer_store_dword v16, off, s[0:3], s33 offset:140 ; 4-byte Folded Spill
	s_trap 2
	ds_read_b64 v[14:15], v0
	v_cmp_eq_u32_e64 s[26:27], 0, v0
	v_cndmask_b32_e64 v0, 0, v3, s[26:27]
	s_waitcnt lgkmcnt(0)
	v_cmp_ne_u64_e32 vcc, 0, v[14:15]
	s_cbranch_vccz .LBB6_830
; %bb.819:                              ;   in Loop: Header=BB6_750 Depth=3
	s_mov_b64 s[28:29], -1
	s_and_saveexec_b64 s[26:27], s[20:21]
	s_cbranch_execz .LBB6_821
; %bb.820:                              ;   in Loop: Header=BB6_750 Depth=3
	ds_read_b32 v1, v0 offset:720
	s_waitcnt lgkmcnt(0)
	v_and_b32_e32 v1, 15, v1
	v_cmp_eq_u32_e32 vcc, 0, v1
	s_orn2_b64 s[28:29], vcc, exec
.LBB6_821:                              ;   in Loop: Header=BB6_750 Depth=3
	s_or_b64 exec, exec, s[26:27]
	s_and_saveexec_b64 s[26:27], s[22:23]
	s_cbranch_execz .LBB6_823
; %bb.822:                              ;   in Loop: Header=BB6_750 Depth=3
	ds_read_b32 v1, v0 offset:784
	s_waitcnt lgkmcnt(0)
	v_and_b32_e32 v1, 15, v1
	v_cmp_eq_u32_e32 vcc, 0, v1
	s_and_b64 s[40:41], s[28:29], vcc
	s_andn2_b64 s[28:29], s[28:29], exec
	s_and_b64 s[40:41], s[40:41], exec
	s_or_b64 s[28:29], s[28:29], s[40:41]
.LBB6_823:                              ;   in Loop: Header=BB6_750 Depth=3
	s_or_b64 exec, exec, s[26:27]
	buffer_load_dword v17, off, s[0:3], s33 offset:148 ; 4-byte Folded Reload
	s_xor_b64 s[28:29], s[28:29], -1
	v_cndmask_b32_e64 v1, 0, 1, s[28:29]
	s_mov_b64 s[26:27], -1
	v_mov_b32_e32 v6, 0
	v_cmp_ne_u32_e32 vcc, 0, v1
	v_mov_b32_e32 v16, v0
	s_cbranch_vccz .LBB6_832
; %bb.824:                              ;   in Loop: Header=BB6_750 Depth=3
	s_and_saveexec_b64 s[40:41], s[26:27]
	s_cbranch_execnz .LBB6_845
	s_branch .LBB6_855
.LBB6_825:                              ;   in Loop: Header=BB6_750 Depth=3
	s_mov_b64 s[26:27], 0
	s_and_saveexec_b64 s[28:29], s[10:11]
	s_cbranch_execnz .LBB6_882
.LBB6_826:                              ;   in Loop: Header=BB6_750 Depth=3
	s_or_b64 exec, exec, s[28:29]
                                        ; implicit-def: $vgpr0
	s_and_saveexec_b64 s[28:29], s[24:25]
	s_xor_b64 s[28:29], exec, s[28:29]
	s_cbranch_execz .LBB6_900
.LBB6_827:                              ;   in Loop: Header=BB6_750 Depth=3
	v_and_b32_e32 v1, 16, v45
	v_cmp_ne_u32_e32 vcc, 0, v1
	v_and_b32_e32 v0, 16, v45
	s_and_b64 s[40:41], vcc, s[26:27]
	s_and_saveexec_b64 s[26:27], s[40:41]
	s_cbranch_execz .LBB6_829
; %bb.828:                              ;   in Loop: Header=BB6_750 Depth=3
	v_mov_b32_e32 v0, 1
	s_waitcnt vmcnt(0) lgkmcnt(0)
	buffer_wbinvl1_vol
.LBB6_829:                              ;   in Loop: Header=BB6_750 Depth=3
	s_or_b64 exec, exec, s[26:27]
	s_andn2_saveexec_b64 s[26:27], s[28:29]
	s_cbranch_execz .LBB6_919
	s_branch .LBB6_901
.LBB6_830:                              ;   in Loop: Header=BB6_750 Depth=3
	buffer_load_dword v15, off, s[0:3], s33 offset:136 ; 4-byte Folded Reload
	buffer_load_dword v16, off, s[0:3], s33 offset:140 ; 4-byte Folded Reload
	s_cbranch_execnz .LBB6_856
.LBB6_831:                              ;   in Loop: Header=BB6_750 Depth=3
	v_cmp_lt_i32_e64 s[26:27], 0, v0
	s_and_saveexec_b64 s[28:29], s[10:11]
	s_cbranch_execnz .LBB6_882
	s_branch .LBB6_826
.LBB6_832:                              ;   in Loop: Header=BB6_750 Depth=3
	buffer_load_dword v2, off, s[0:3], s33 offset:228 ; 4-byte Folded Reload
	v_ashrrev_i32_e32 v1, 31, v0
	v_lshrrev_b32_e32 v1, 20, v1
	v_add_u32_e32 v1, v0, v1
	v_ashrrev_i32_e32 v1, 12, v1
	s_waitcnt vmcnt(0)
	v_sub_u32_e32 v2, v1, v2
	v_cmp_lt_i32_e32 vcc, 0, v2
	s_and_saveexec_b64 s[26:27], vcc
	s_cbranch_execz .LBB6_836
; %bb.833:                              ;   in Loop: Header=BB6_750 Depth=3
	buffer_load_dword v6, off, s[0:3], s33 offset:284 ; 4-byte Folded Reload
	s_mov_b64 s[28:29], 0
	s_waitcnt vmcnt(0)
	v_add_co_u32_e32 v8, vcc, v4, v6
	v_addc_co_u32_e32 v9, vcc, 0, v5, vcc
	v_add_co_u32_e32 v10, vcc, v12, v6
	v_addc_co_u32_e32 v11, vcc, 0, v13, vcc
	;; [unrolled: 2-line block ×3, first 2 shown]
.LBB6_834:                              ;   Parent Loop BB6_47 Depth=1
                                        ;     Parent Loop BB6_747 Depth=2
                                        ;       Parent Loop BB6_750 Depth=3
                                        ; =>      This Inner Loop Header: Depth=4
	global_load_dwordx4 v[21:24], v[8:9], off glc slc
	global_load_dwordx4 v[25:28], v[8:9], off offset:1024 glc slc
	global_load_dwordx4 v[29:32], v[8:9], off offset:2048 glc slc
	;; [unrolled: 1-line block ×3, first 2 shown]
	buffer_load_dword v6, off, s[0:3], s33 offset:108 ; 4-byte Folded Reload
	v_sub_u32_e32 v2, v2, v53
	s_waitcnt vmcnt(4)
	global_store_dwordx4 v[10:11], v[21:24], off glc slc
	s_waitcnt vmcnt(4)
	global_store_dwordx4 v[10:11], v[25:28], off offset:1024 glc slc
	s_waitcnt vmcnt(4)
	global_store_dwordx4 v[10:11], v[29:32], off offset:2048 glc slc
	s_waitcnt vmcnt(4)
	global_store_dwordx4 v[10:11], v[33:36], off offset:3072 glc slc
	global_store_dwordx4 v[16:17], v[21:24], off glc slc
	global_store_dwordx4 v[16:17], v[25:28], off offset:1024 glc slc
	global_store_dwordx4 v[16:17], v[29:32], off offset:2048 glc slc
	;; [unrolled: 1-line block ×3, first 2 shown]
	s_waitcnt vmcnt(8)
	v_add_co_u32_e32 v8, vcc, v8, v6
	buffer_load_dword v6, off, s[0:3], s33 offset:108 ; 4-byte Folded Reload
	v_addc_co_u32_e32 v9, vcc, 0, v9, vcc
	v_cmp_gt_i32_e32 vcc, 1, v2
	s_or_b64 s[28:29], vcc, s[28:29]
	s_waitcnt vmcnt(0)
	v_add_co_u32_e32 v10, vcc, v10, v6
	v_addc_co_u32_e32 v11, vcc, 0, v11, vcc
	v_add_co_u32_e32 v16, vcc, v16, v6
	v_addc_co_u32_e32 v17, vcc, 0, v17, vcc
	s_andn2_b64 exec, exec, s[28:29]
	s_cbranch_execnz .LBB6_834
; %bb.835:                              ;   in Loop: Header=BB6_750 Depth=3
	s_or_b64 exec, exec, s[28:29]
	buffer_load_dword v32, off, s[0:3], s33 offset:192 ; 4-byte Folded Reload
	buffer_load_dword v33, off, s[0:3], s33 offset:112 ; 4-byte Folded Reload
	;; [unrolled: 1-line block ×7, first 2 shown]
	v_mov_b32_e32 v26, 0xc8
	v_mov_b32_e32 v24, 0x90
.LBB6_836:                              ;   in Loop: Header=BB6_750 Depth=3
	s_or_b64 exec, exec, s[26:27]
	v_lshlrev_b32_e32 v1, 12, v1
	v_cmp_ne_u32_e32 vcc, v0, v1
	s_mov_b64 s[26:27], 0
	v_mov_b32_e32 v6, 0
                                        ; implicit-def: $vgpr16
                                        ; implicit-def: $vgpr17
	s_and_saveexec_b64 s[78:79], vcc
	s_cbranch_execz .LBB6_844
; %bb.837:                              ;   in Loop: Header=BB6_750 Depth=3
	buffer_load_dword v6, off, s[0:3], s33 offset:340 ; 4-byte Folded Reload
	v_lshlrev_b32_e32 v2, 6, v2
	v_sub_u32_e32 v9, v0, v1
	s_waitcnt vmcnt(0)
	v_sub_u32_e32 v2, v6, v2
	v_ashrrev_i32_e32 v6, 31, v2
	v_lshrrev_b32_e32 v6, 26, v6
	v_add_u32_e32 v6, v2, v6
	v_ashrrev_i32_e32 v10, 6, v6
	v_and_b32_e32 v6, 0xffffffc0, v6
	v_sub_u32_e32 v2, v2, v6
	v_lshlrev_b32_e32 v6, 4, v2
	v_lshl_add_u32 v8, v10, 10, v6
	v_ashrrev_i32_e32 v6, 31, v9
	v_lshrrev_b32_e32 v6, 22, v6
	v_add_u32_e32 v6, v9, v6
	v_ashrrev_i32_e32 v11, 10, v6
	v_and_b32_e32 v6, 0xfffffc00, v6
	v_sub_u32_e32 v21, v9, v6
	v_cmp_lt_i32_e64 s[26:27], 15, v21
	v_sub_u32_e32 v23, v9, v8
	v_addc_co_u32_e64 v9, vcc, 0, v11, s[26:27]
	v_sub_u32_e32 v22, v9, v10
	v_cmp_lt_i32_e32 vcc, 15, v23
	s_and_saveexec_b64 s[88:89], vcc
	s_cbranch_execz .LBB6_843
; %bb.838:                              ;   in Loop: Header=BB6_750 Depth=3
	v_add_u32_e32 v8, v8, v1
	v_ashrrev_i32_e32 v9, 31, v8
	v_add_co_u32_e32 v16, vcc, v8, v4
	v_addc_co_u32_e32 v17, vcc, v9, v5, vcc
	v_add_co_u32_e32 v24, vcc, v8, v12
	v_addc_co_u32_e32 v25, vcc, v9, v13, vcc
	;; [unrolled: 2-line block ×3, first 2 shown]
	s_mov_b64 s[90:91], 0
.LBB6_839:                              ;   Parent Loop BB6_47 Depth=1
                                        ;     Parent Loop BB6_747 Depth=2
                                        ;       Parent Loop BB6_750 Depth=3
                                        ; =>      This Loop Header: Depth=4
                                        ;           Child Loop BB6_840 Depth 5
	global_load_dwordx4 v[8:11], v[16:17], off glc slc
	s_mov_b64 s[92:93], -1
	s_mov_b64 s[94:95], 0
	s_waitcnt vmcnt(0)
.LBB6_840:                              ;   Parent Loop BB6_47 Depth=1
                                        ;     Parent Loop BB6_747 Depth=2
                                        ;       Parent Loop BB6_750 Depth=3
                                        ;         Parent Loop BB6_839 Depth=4
                                        ; =>        This Inner Loop Header: Depth=5
	s_cmp_eq_u32 s94, 1
	s_cselect_b64 s[28:29], -1, 0
	v_cndmask_b32_e64 v29, v25, v27, s[28:29]
	v_cndmask_b32_e64 v28, v24, v26, s[28:29]
	global_store_dwordx4 v[28:29], v[8:11], off glc slc
	v_add_co_u32_e32 v28, vcc, 0x400, v28
	s_cmp_eq_u32 s94, 0
	v_addc_co_u32_e32 v29, vcc, 0, v29, vcc
	s_cselect_b64 vcc, -1, 0
	s_and_b64 s[40:41], exec, s[92:93]
	s_mov_b64 s[94:95], 1
	v_cndmask_b32_e64 v26, v26, v28, s[28:29]
	s_mov_b64 s[92:93], 0
	v_cndmask_b32_e64 v27, v27, v29, s[28:29]
	v_cndmask_b32_e32 v25, v25, v29, vcc
	v_cndmask_b32_e32 v24, v24, v28, vcc
	s_mov_b64 vcc, s[40:41]
	s_cbranch_vccnz .LBB6_840
; %bb.841:                              ;   in Loop: Header=BB6_839 Depth=4
	buffer_load_dword v7, off, s[0:3], s33 offset:152 ; 4-byte Folded Reload
	buffer_load_dword v8, off, s[0:3], s33 offset:156 ; 4-byte Folded Reload
	v_sub_u32_e32 v23, v23, v32
	v_sub_u32_e32 v22, v22, v53
	s_waitcnt vmcnt(1)
	v_add_co_u32_e32 v24, vcc, v24, v7
	s_waitcnt vmcnt(0)
	v_addc_co_u32_e32 v25, vcc, v25, v8, vcc
	v_add_co_u32_e32 v26, vcc, v26, v7
	buffer_load_dword v7, off, s[0:3], s33 offset:160 ; 4-byte Folded Reload
	v_addc_co_u32_e32 v27, vcc, v27, v8, vcc
	s_waitcnt vmcnt(0)
	v_add_co_u32_e32 v16, vcc, v7, v16
	buffer_load_dword v7, off, s[0:3], s33 offset:164 ; 4-byte Folded Reload
	s_waitcnt vmcnt(0)
	v_addc_co_u32_e32 v17, vcc, v7, v17, vcc
	v_cmp_gt_i32_e32 vcc, 16, v23
	s_or_b64 s[90:91], vcc, s[90:91]
	s_andn2_b64 exec, exec, s[90:91]
	s_cbranch_execnz .LBB6_839
; %bb.842:                              ;   in Loop: Header=BB6_750 Depth=3
	s_or_b64 exec, exec, s[90:91]
	buffer_load_dword v27, off, s[0:3], s33 offset:188 ; 4-byte Folded Reload
	buffer_load_dword v25, off, s[0:3], s33 offset:184 ; 4-byte Folded Reload
	v_mov_b32_e32 v26, 0xc8
	v_mov_b32_e32 v24, 0x90
.LBB6_843:                              ;   in Loop: Header=BB6_750 Depth=3
	s_or_b64 exec, exec, s[88:89]
	v_and_b32_e32 v8, 15, v0
	v_sub_u32_e32 v9, v21, v8
	v_cndmask_b32_e64 v9, 0, v9, s[26:27]
	v_cmp_lt_i32_e32 vcc, 0, v22
	v_add3_u32 v6, v6, v1, v9
	v_cndmask_b32_e64 v16, v21, v8, s[26:27]
	v_cndmask_b32_e32 v1, 0, v53, vcc
	v_sub_u32_e32 v1, v1, v22
	v_cmp_ne_u32_e32 vcc, 0, v16
	v_lshl_add_u32 v17, v1, 6, v2
	s_and_b64 s[26:27], vcc, exec
.LBB6_844:                              ;   in Loop: Header=BB6_750 Depth=3
	s_or_b64 exec, exec, s[78:79]
	s_and_saveexec_b64 s[40:41], s[26:27]
	s_cbranch_execz .LBB6_855
.LBB6_845:                              ;   in Loop: Header=BB6_750 Depth=3
	s_waitcnt vmcnt(0)
	v_ashrrev_i32_e32 v1, 31, v17
	v_ashrrev_i32_e32 v2, 31, v16
	v_lshrrev_b32_e32 v1, 26, v1
	v_lshrrev_b32_e32 v2, 21, v2
	v_add_u32_e32 v1, v17, v1
	v_add_u32_e32 v2, v16, v2
	v_ashrrev_i32_e32 v21, 6, v1
	v_ashrrev_i32_e32 v23, 11, v2
	v_sub_u32_e32 v22, v23, v21
	v_cmp_lt_i32_e32 vcc, 0, v22
	s_and_saveexec_b64 s[26:27], vcc
	s_cbranch_execz .LBB6_849
; %bb.846:                              ;   in Loop: Header=BB6_750 Depth=3
	v_and_b32_e32 v1, 0xffffffc0, v1
	v_sub_u32_e32 v1, v17, v1
	v_lshlrev_b32_e32 v2, 11, v21
	v_add3_u32 v1, v6, v1, v2
	v_ashrrev_i32_e32 v2, 31, v1
	v_add_co_u32_e32 v8, vcc, v1, v12
	v_addc_co_u32_e32 v9, vcc, v2, v13, vcc
	v_add_co_u32_e32 v10, vcc, v1, v14
	v_addc_co_u32_e32 v11, vcc, v2, v15, vcc
	;; [unrolled: 2-line block ×3, first 2 shown]
	v_add_co_u32_e32 v14, vcc, v14, v1
	v_mov_b32_e32 v7, v51
	v_addc_co_u32_e32 v15, vcc, v15, v2, vcc
	s_mov_b64 s[28:29], 0
	buffer_store_dword v37, off, s[0:3], s33 offset:220 ; 4-byte Folded Spill
	s_nop 0
	buffer_store_dword v38, off, s[0:3], s33 offset:224 ; 4-byte Folded Spill
	buffer_store_dword v56, off, s[0:3], s33 offset:212 ; 4-byte Folded Spill
	s_nop 0
	buffer_store_dword v57, off, s[0:3], s33 offset:216 ; 4-byte Folded Spill
.LBB6_847:                              ;   Parent Loop BB6_47 Depth=1
                                        ;     Parent Loop BB6_747 Depth=2
                                        ;       Parent Loop BB6_750 Depth=3
                                        ; =>      This Inner Loop Header: Depth=4
	v_add_co_u32_e32 v1, vcc, 0xfffff840, v14
	v_addc_co_u32_e32 v2, vcc, -1, v15, vcc
	v_add_co_u32_e32 v24, vcc, 0xfffff880, v14
	v_addc_co_u32_e32 v25, vcc, -1, v15, vcc
	flat_load_ubyte v24, v[24:25] glc slc
	v_add_co_u32_e32 v25, vcc, 0xfffff8c0, v14
	v_addc_co_u32_e32 v26, vcc, -1, v15, vcc
	flat_load_ubyte v25, v[25:26] glc slc
	;; [unrolled: 3-line block ×16, first 2 shown]
	s_nop 0
	flat_load_ubyte v39, v[48:49] glc slc
	v_add_co_u32_e32 v48, vcc, 0xfffffc80, v14
	v_addc_co_u32_e32 v49, vcc, -1, v15, vcc
	flat_load_ubyte v48, v[48:49] glc slc
	v_add_co_u32_e32 v49, vcc, 0xfffffcc0, v14
	v_addc_co_u32_e32 v50, vcc, -1, v15, vcc
	;; [unrolled: 3-line block ×14, first 2 shown]
	flat_load_ubyte v2, v[52:53] glc slc
	s_nop 0
	flat_load_ubyte v52, v[14:15] glc slc
	buffer_load_dword v53, off, s[0:3], s33 offset:56 ; 4-byte Folded Reload
	s_waitcnt vmcnt(0) lgkmcnt(0)
	flat_store_byte v[8:9], v1 glc slc
	flat_store_byte v[8:9], v24 offset:64 glc slc
	flat_store_byte v[8:9], v25 offset:128 glc slc
	;; [unrolled: 1-line block ×31, first 2 shown]
	flat_store_byte v[10:11], v1 glc slc
	flat_store_byte v[10:11], v24 offset:64 glc slc
	flat_store_byte v[10:11], v25 offset:128 glc slc
	;; [unrolled: 1-line block ×10, first 2 shown]
	buffer_load_dword v33, off, s[0:3], s33 offset:112 ; 4-byte Folded Reload
	s_nop 0
	flat_store_byte v[10:11], v34 offset:704 glc slc
	flat_store_byte v[10:11], v35 offset:768 glc slc
	;; [unrolled: 1-line block ×21, first 2 shown]
	v_sub_u32_e32 v22, v22, v53
	s_waitcnt vmcnt(0)
	v_add_co_u32_e32 v8, vcc, v8, v33
	v_addc_co_u32_e32 v9, vcc, 0, v9, vcc
	v_add_co_u32_e32 v10, vcc, v10, v33
	v_addc_co_u32_e32 v11, vcc, 0, v11, vcc
	;; [unrolled: 2-line block ×3, first 2 shown]
	v_cmp_gt_i32_e32 vcc, 1, v22
	s_or_b64 s[28:29], vcc, s[28:29]
	s_andn2_b64 exec, exec, s[28:29]
	s_cbranch_execnz .LBB6_847
; %bb.848:                              ;   in Loop: Header=BB6_750 Depth=3
	s_or_b64 exec, exec, s[28:29]
	buffer_load_dword v48, off, s[0:3], s33 offset:260 ; 4-byte Folded Reload
	buffer_load_dword v49, off, s[0:3], s33 offset:264 ; 4-byte Folded Reload
	;; [unrolled: 1-line block ×17, first 2 shown]
	v_mov_b32_e32 v51, v7
	v_mov_b32_e32 v54, 1
	;; [unrolled: 1-line block ×4, first 2 shown]
.LBB6_849:                              ;   in Loop: Header=BB6_750 Depth=3
	s_or_b64 exec, exec, s[26:27]
	v_lshlrev_b32_e32 v1, 11, v23
	v_cmp_ne_u32_e32 vcc, v16, v1
	s_and_b64 exec, exec, vcc
	s_cbranch_execz .LBB6_855
; %bb.850:                              ;   in Loop: Header=BB6_750 Depth=3
	v_lshlrev_b32_e32 v2, 6, v21
	v_sub_u32_e32 v2, v17, v2
	v_lshlrev_b32_e32 v8, 6, v22
	v_sub_u32_e32 v2, v2, v8
	v_add_u32_e32 v2, v1, v2
	v_sub_u32_e32 v1, v16, v2
	v_cmp_lt_i32_e32 vcc, 0, v1
	s_and_b64 exec, exec, vcc
	s_cbranch_execz .LBB6_855
; %bb.851:                              ;   in Loop: Header=BB6_750 Depth=3
	s_trap 2
	ds_read_b64 v[8:9], v0
	ds_read_b128 v[14:17], v0
	v_add_u32_e32 v10, v2, v6
	v_ashrrev_i32_e32 v11, 31, v10
	s_mov_b64 s[78:79], 0
	s_waitcnt lgkmcnt(0)
	v_add_co_u32_e32 v8, vcc, v8, v10
	v_addc_co_u32_e32 v9, vcc, v9, v11, vcc
	v_add_co_u32_e32 v2, vcc, v14, v10
	v_addc_co_u32_e32 v6, vcc, v15, v11, vcc
	;; [unrolled: 2-line block ×3, first 2 shown]
.LBB6_852:                              ;   Parent Loop BB6_47 Depth=1
                                        ;     Parent Loop BB6_747 Depth=2
                                        ;       Parent Loop BB6_750 Depth=3
                                        ; =>      This Loop Header: Depth=4
                                        ;           Child Loop BB6_853 Depth 5
	flat_load_ubyte v14, v[8:9] glc slc
	s_mov_b64 s[88:89], -1
	s_mov_b64 s[90:91], 0
	s_waitcnt vmcnt(0)
.LBB6_853:                              ;   Parent Loop BB6_47 Depth=1
                                        ;     Parent Loop BB6_747 Depth=2
                                        ;       Parent Loop BB6_750 Depth=3
                                        ;         Parent Loop BB6_852 Depth=4
                                        ; =>        This Inner Loop Header: Depth=5
	s_cmp_eq_u32 s90, 1
	s_cselect_b64 vcc, -1, 0
	v_cndmask_b32_e32 v16, v6, v11, vcc
	v_cndmask_b32_e32 v15, v2, v10, vcc
	s_waitcnt lgkmcnt(0)
	flat_store_byte v[15:16], v14 glc slc
	v_add_co_u32_e64 v15, s[26:27], 64, v15
	s_cmp_eq_u32 s90, 0
	v_addc_co_u32_e64 v16, s[26:27], 0, v16, s[26:27]
	s_cselect_b64 s[26:27], -1, 0
	s_and_b64 s[28:29], exec, s[88:89]
	s_mov_b64 s[90:91], 1
	s_mov_b64 s[88:89], 0
	v_cndmask_b32_e32 v11, v11, v16, vcc
	v_cndmask_b32_e32 v10, v10, v15, vcc
	v_cndmask_b32_e64 v6, v6, v16, s[26:27]
	v_cndmask_b32_e64 v2, v2, v15, s[26:27]
	s_mov_b64 vcc, s[28:29]
	s_cbranch_vccnz .LBB6_853
; %bb.854:                              ;   in Loop: Header=BB6_852 Depth=4
	v_add_co_u32_e32 v2, vcc, v2, v34
	v_addc_co_u32_e32 v6, vcc, v6, v35, vcc
	v_add_co_u32_e32 v10, vcc, v10, v34
	v_addc_co_u32_e32 v11, vcc, v11, v35, vcc
	v_sub_u32_e32 v1, v1, v50
	v_cmp_gt_i32_e32 vcc, 1, v1
	s_or_b64 s[78:79], vcc, s[78:79]
	v_add_co_u32_e32 v8, vcc, v27, v8
	v_addc_co_u32_e32 v9, vcc, v25, v9, vcc
	s_andn2_b64 exec, exec, s[78:79]
	s_cbranch_execnz .LBB6_852
.LBB6_855:                              ;   in Loop: Header=BB6_750 Depth=3
	s_or_b64 exec, exec, s[40:41]
	buffer_load_dword v22, off, s[0:3], s33 offset:168 ; 4-byte Folded Reload
	buffer_load_dword v23, off, s[0:3], s33 offset:172 ; 4-byte Folded Reload
	;; [unrolled: 1-line block ×4, first 2 shown]
	s_branch .LBB6_831
.LBB6_856:                              ;   in Loop: Header=BB6_750 Depth=3
	s_mov_b64 s[26:27], -1
	s_and_saveexec_b64 s[28:29], s[20:21]
	s_cbranch_execz .LBB6_858
; %bb.857:                              ;   in Loop: Header=BB6_750 Depth=3
	ds_read_b32 v1, v0 offset:720
	s_waitcnt lgkmcnt(0)
	v_and_b32_e32 v1, 15, v1
	v_cmp_eq_u32_e32 vcc, 0, v1
	s_orn2_b64 s[26:27], vcc, exec
.LBB6_858:                              ;   in Loop: Header=BB6_750 Depth=3
	s_or_b64 exec, exec, s[28:29]
	s_and_saveexec_b64 s[28:29], s[18:19]
	s_cbranch_execz .LBB6_860
; %bb.859:                              ;   in Loop: Header=BB6_750 Depth=3
	ds_read_b32 v1, v0 offset:784
	s_waitcnt lgkmcnt(0)
	v_and_b32_e32 v1, 15, v1
	v_cmp_eq_u32_e32 vcc, 0, v1
	s_and_b64 s[40:41], s[26:27], vcc
	s_andn2_b64 s[26:27], s[26:27], exec
	s_and_b64 s[40:41], s[40:41], exec
	s_or_b64 s[26:27], s[26:27], s[40:41]
.LBB6_860:                              ;   in Loop: Header=BB6_750 Depth=3
	s_or_b64 exec, exec, s[28:29]
	buffer_load_dword v6, off, s[0:3], s33 offset:148 ; 4-byte Folded Reload
	s_xor_b64 s[26:27], s[26:27], -1
	v_cndmask_b32_e64 v2, 0, 1, s[26:27]
	s_mov_b64 s[40:41], -1
	v_mov_b32_e32 v1, 0
	v_cmp_ne_u32_e32 vcc, 0, v2
	v_mov_b32_e32 v2, v0
	s_cbranch_vccz .LBB6_862
; %bb.861:                              ;   in Loop: Header=BB6_750 Depth=3
	s_and_saveexec_b64 s[26:27], s[40:41]
	s_cbranch_execnz .LBB6_873
	s_branch .LBB6_881
.LBB6_862:                              ;   in Loop: Header=BB6_750 Depth=3
	buffer_load_dword v2, off, s[0:3], s33 offset:228 ; 4-byte Folded Reload
	v_ashrrev_i32_e32 v1, 31, v0
	v_lshrrev_b32_e32 v1, 19, v1
	v_add_u32_e32 v1, v0, v1
	v_ashrrev_i32_e32 v1, 13, v1
	s_waitcnt vmcnt(0)
	v_sub_u32_e32 v14, v1, v2
	v_cmp_lt_i32_e32 vcc, 0, v14
	s_and_saveexec_b64 s[28:29], vcc
	s_cbranch_execz .LBB6_866
; %bb.863:                              ;   in Loop: Header=BB6_750 Depth=3
	v_mov_b32_e32 v6, v37
	v_mov_b32_e32 v46, v56
	;; [unrolled: 1-line block ×7, first 2 shown]
	s_mov_b64 s[40:41], 0
	v_mov_b32_e32 v9, v13
	v_mov_b32_e32 v10, v4
	;; [unrolled: 1-line block ×4, first 2 shown]
.LBB6_864:                              ;   Parent Loop BB6_47 Depth=1
                                        ;     Parent Loop BB6_747 Depth=2
                                        ;       Parent Loop BB6_750 Depth=3
                                        ; =>      This Inner Loop Header: Depth=4
	s_waitcnt vmcnt(0)
	v_add_co_u32_e32 v15, vcc, v36, v10
	v_addc_co_u32_e32 v16, vcc, 0, v11, vcc
	global_load_dwordx4 v[21:24], v[15:16], off glc slc
	global_load_dwordx4 v[25:28], v[15:16], off offset:1024 glc slc
	global_load_dwordx4 v[29:32], v[15:16], off offset:2048 glc slc
	;; [unrolled: 1-line block ×3, first 2 shown]
	v_add_co_u32_e32 v15, vcc, s53, v15
	v_addc_co_u32_e32 v16, vcc, 0, v16, vcc
	global_load_dwordx4 v[48:51], v[15:16], off glc slc
	global_load_dwordx4 v[52:55], v[15:16], off offset:1024 glc slc
	global_load_dwordx4 v[37:40], v[15:16], off offset:2048 glc slc
	;; [unrolled: 1-line block ×3, first 2 shown]
	v_sub_u32_e32 v14, v14, v17
	buffer_load_dword v15, off, s[0:3], s33 offset:116 ; 4-byte Folded Reload
	v_cmp_gt_i32_e64 s[26:27], 1, v14
	s_or_b64 s[40:41], s[26:27], s[40:41]
	s_waitcnt vmcnt(0)
	v_add_co_u32_e32 v15, vcc, v15, v8
	v_addc_co_u32_e32 v16, vcc, 0, v9, vcc
	global_store_dwordx4 v[15:16], v[21:24], off glc slc
	global_store_dwordx4 v[15:16], v[25:28], off offset:1024 glc slc
	global_store_dwordx4 v[15:16], v[29:32], off offset:2048 glc slc
	;; [unrolled: 1-line block ×3, first 2 shown]
	buffer_load_dword v36, off, s[0:3], s33 offset:116 ; 4-byte Folded Reload
	v_add_co_u32_e32 v10, vcc, v10, v44
	v_addc_co_u32_e32 v11, vcc, 0, v11, vcc
	v_add_co_u32_e32 v8, vcc, v8, v44
	v_addc_co_u32_e32 v9, vcc, 0, v9, vcc
	;; [unrolled: 2-line block ×3, first 2 shown]
	global_store_dwordx4 v[41:42], v[48:51], off glc slc
	global_store_dwordx4 v[41:42], v[52:55], off offset:1024 glc slc
	global_store_dwordx4 v[41:42], v[37:40], off offset:2048 glc slc
	;; [unrolled: 1-line block ×3, first 2 shown]
	s_andn2_b64 exec, exec, s[40:41]
	s_cbranch_execnz .LBB6_864
; %bb.865:                              ;   in Loop: Header=BB6_750 Depth=3
	s_or_b64 exec, exec, s[40:41]
	buffer_load_dword v42, off, s[0:3], s33 offset:288 ; 4-byte Folded Reload
	buffer_load_dword v43, off, s[0:3], s33 offset:292 ; 4-byte Folded Reload
	;; [unrolled: 1-line block ×18, first 2 shown]
	v_mov_b32_e32 v57, v47
	v_mov_b32_e32 v38, v7
	;; [unrolled: 1-line block ×10, first 2 shown]
.LBB6_866:                              ;   in Loop: Header=BB6_750 Depth=3
	s_or_b64 exec, exec, s[28:29]
	v_lshlrev_b32_e32 v8, 13, v1
	v_cmp_ne_u32_e32 vcc, v0, v8
	s_mov_b64 s[40:41], 0
	v_mov_b32_e32 v1, 0
                                        ; implicit-def: $vgpr2
                                        ; implicit-def: $vgpr6
	s_and_saveexec_b64 s[28:29], vcc
	s_cbranch_execz .LBB6_872
; %bb.867:                              ;   in Loop: Header=BB6_750 Depth=3
	buffer_load_dword v6, off, s[0:3], s33 offset:340 ; 4-byte Folded Reload
	v_lshlrev_b32_e32 v1, 6, v14
	v_sub_u32_e32 v2, v0, v8
	s_waitcnt vmcnt(0)
	v_sub_u32_e32 v1, v6, v1
	v_ashrrev_i32_e32 v6, 31, v1
	v_lshrrev_b32_e32 v6, 26, v6
	v_add_u32_e32 v6, v1, v6
	v_ashrrev_i32_e32 v9, 6, v6
	v_and_b32_e32 v6, 0xffffffc0, v6
	v_sub_u32_e32 v6, v1, v6
	v_lshlrev_b32_e32 v1, 4, v6
	v_lshl_add_u32 v11, v9, 10, v1
	v_ashrrev_i32_e32 v1, 31, v2
	v_lshrrev_b32_e32 v1, 22, v1
	v_add_u32_e32 v1, v2, v1
	v_ashrrev_i32_e32 v14, 10, v1
	v_and_b32_e32 v1, 0xfffffc00, v1
	v_sub_u32_e32 v10, v2, v11
	v_sub_u32_e32 v2, v2, v1
	v_cmp_lt_i32_e32 vcc, 15, v2
	v_addc_co_u32_e64 v14, s[26:27], 0, v14, vcc
	v_sub_u32_e32 v9, v14, v9
	v_cmp_lt_i32_e64 s[26:27], 15, v10
	s_and_saveexec_b64 s[40:41], s[26:27]
	s_cbranch_execz .LBB6_871
; %bb.868:                              ;   in Loop: Header=BB6_750 Depth=3
	v_add_u32_e32 v11, v11, v8
	v_ashrrev_i32_e32 v14, 31, v11
	s_mov_b64 s[78:79], 0
.LBB6_869:                              ;   Parent Loop BB6_47 Depth=1
                                        ;     Parent Loop BB6_747 Depth=2
                                        ;       Parent Loop BB6_750 Depth=3
                                        ; =>      This Inner Loop Header: Depth=4
	v_add_co_u32_e64 v15, s[26:27], v4, v11
	v_addc_co_u32_e64 v16, s[26:27], v5, v14, s[26:27]
	global_load_dwordx4 v[21:24], v[15:16], off glc slc
	v_add_co_u32_e64 v15, s[26:27], v12, v11
	v_addc_co_u32_e64 v16, s[26:27], v13, v14, s[26:27]
	v_add_co_u32_e64 v11, s[26:27], v11, v32
	v_sub_u32_e32 v10, v10, v32
	v_addc_co_u32_e64 v14, s[26:27], 0, v14, s[26:27]
	v_cmp_gt_i32_e64 s[26:27], 16, v10
	v_sub_u32_e32 v9, v9, v53
	s_or_b64 s[78:79], s[26:27], s[78:79]
	s_waitcnt vmcnt(0)
	global_store_dwordx4 v[15:16], v[21:24], off glc slc
	s_andn2_b64 exec, exec, s[78:79]
	s_cbranch_execnz .LBB6_869
; %bb.870:                              ;   in Loop: Header=BB6_750 Depth=3
	s_or_b64 exec, exec, s[78:79]
	buffer_load_dword v22, off, s[0:3], s33 offset:168 ; 4-byte Folded Reload
	buffer_load_dword v23, off, s[0:3], s33 offset:172 ; 4-byte Folded Reload
	;; [unrolled: 1-line block ×4, first 2 shown]
	v_mov_b32_e32 v24, 0x90
.LBB6_871:                              ;   in Loop: Header=BB6_750 Depth=3
	s_or_b64 exec, exec, s[40:41]
	v_and_b32_e32 v10, 15, v0
	v_sub_u32_e32 v11, v2, v10
	v_cndmask_b32_e32 v11, 0, v11, vcc
	v_cndmask_b32_e32 v2, v2, v10, vcc
	v_cmp_lt_i32_e32 vcc, 0, v9
	v_add3_u32 v1, v1, v8, v11
	v_cndmask_b32_e32 v8, 0, v53, vcc
	v_sub_u32_e32 v8, v8, v9
	v_cmp_ne_u32_e32 vcc, 0, v2
	v_lshl_add_u32 v6, v8, 6, v6
	s_and_b64 s[40:41], vcc, exec
.LBB6_872:                              ;   in Loop: Header=BB6_750 Depth=3
	s_or_b64 exec, exec, s[28:29]
	s_and_saveexec_b64 s[26:27], s[40:41]
	s_cbranch_execz .LBB6_881
.LBB6_873:                              ;   in Loop: Header=BB6_750 Depth=3
	s_waitcnt vmcnt(0)
	v_ashrrev_i32_e32 v8, 31, v6
	v_ashrrev_i32_e32 v9, 31, v2
	v_lshrrev_b32_e32 v8, 26, v8
	v_lshrrev_b32_e32 v9, 21, v9
	v_add_u32_e32 v11, v6, v8
	v_add_u32_e32 v9, v2, v9
	v_ashrrev_i32_e32 v8, 6, v11
	v_ashrrev_i32_e32 v10, 11, v9
	v_sub_u32_e32 v9, v10, v8
	v_cmp_lt_i32_e32 vcc, 0, v9
	s_and_saveexec_b64 s[28:29], vcc
	s_cbranch_execz .LBB6_877
; %bb.874:                              ;   in Loop: Header=BB6_750 Depth=3
	v_and_b32_e32 v11, 0xffffffc0, v11
	v_sub_u32_e32 v11, v6, v11
	v_lshlrev_b32_e32 v14, 11, v8
	v_mov_b32_e32 v47, v38
	v_add3_u32 v11, v1, v11, v14
	v_mov_b32_e32 v7, v51
	v_mov_b32_e32 v46, v37
	v_ashrrev_i32_e32 v14, 31, v11
	s_mov_b64 s[40:41], 0
	v_mov_b32_e32 v60, v53
	v_mov_b32_e32 v44, v33
.LBB6_875:                              ;   Parent Loop BB6_47 Depth=1
                                        ;     Parent Loop BB6_747 Depth=2
                                        ;       Parent Loop BB6_750 Depth=3
                                        ; =>      This Inner Loop Header: Depth=4
	v_add_co_u32_e32 v15, vcc, v11, v4
	v_addc_co_u32_e32 v16, vcc, v14, v5, vcc
	flat_load_ubyte v17, v[15:16] glc slc
	flat_load_ubyte v21, v[15:16] offset:64 glc slc
	flat_load_ubyte v22, v[15:16] offset:128 glc slc
	;; [unrolled: 1-line block ×31, first 2 shown]
	v_add_co_u32_e32 v15, vcc, v11, v12
	v_addc_co_u32_e32 v16, vcc, v14, v13, vcc
	v_add_co_u32_e32 v4, vcc, v4, v44
	v_addc_co_u32_e32 v5, vcc, 0, v5, vcc
	v_add_co_u32_e32 v12, vcc, v12, v44
	v_sub_u32_e32 v9, v9, v60
	v_addc_co_u32_e32 v13, vcc, 0, v13, vcc
	v_cmp_gt_i32_e32 vcc, 1, v9
	s_or_b64 s[40:41], vcc, s[40:41]
	s_waitcnt vmcnt(0) lgkmcnt(0)
	flat_store_byte v[15:16], v17 glc slc
	flat_store_byte v[15:16], v21 offset:64 glc slc
	flat_store_byte v[15:16], v22 offset:128 glc slc
	;; [unrolled: 1-line block ×31, first 2 shown]
	s_andn2_b64 exec, exec, s[40:41]
	s_cbranch_execnz .LBB6_875
; %bb.876:                              ;   in Loop: Header=BB6_750 Depth=3
	s_or_b64 exec, exec, s[40:41]
	buffer_load_dword v42, off, s[0:3], s33 offset:288 ; 4-byte Folded Reload
	buffer_load_dword v43, off, s[0:3], s33 offset:292 ; 4-byte Folded Reload
	;; [unrolled: 1-line block ×19, first 2 shown]
	v_mov_b32_e32 v37, v46
	v_mov_b32_e32 v38, v47
	;; [unrolled: 1-line block ×8, first 2 shown]
.LBB6_877:                              ;   in Loop: Header=BB6_750 Depth=3
	s_or_b64 exec, exec, s[28:29]
	v_lshlrev_b32_e32 v4, 11, v10
	v_cmp_ne_u32_e32 vcc, v2, v4
	s_and_b64 exec, exec, vcc
	s_cbranch_execz .LBB6_881
; %bb.878:                              ;   in Loop: Header=BB6_750 Depth=3
	v_lshlrev_b32_e32 v5, 6, v8
	v_sub_u32_e32 v5, v6, v5
	v_lshlrev_b32_e32 v6, 6, v9
	v_sub_u32_e32 v5, v5, v6
	v_add_u32_e32 v4, v4, v5
	v_sub_u32_e32 v2, v2, v4
	v_cmp_lt_i32_e32 vcc, 0, v2
	s_and_b64 exec, exec, vcc
	s_cbranch_execz .LBB6_881
; %bb.879:                              ;   in Loop: Header=BB6_750 Depth=3
	v_add_u32_e32 v1, v4, v1
	s_trap 2
	ds_read_b64 v[4:5], v0
	v_ashrrev_i32_e32 v6, 31, v1
	s_mov_b64 s[28:29], 0
.LBB6_880:                              ;   Parent Loop BB6_47 Depth=1
                                        ;     Parent Loop BB6_747 Depth=2
                                        ;       Parent Loop BB6_750 Depth=3
                                        ; =>      This Inner Loop Header: Depth=4
	s_waitcnt lgkmcnt(0)
	v_add_co_u32_e32 v8, vcc, v4, v1
	v_addc_co_u32_e32 v9, vcc, v5, v6, vcc
	flat_load_ubyte v10, v[8:9] glc slc
	s_waitcnt vmcnt(0)
	v_add_co_u32_e32 v1, vcc, v1, v50
	v_sub_u32_e32 v2, v2, v50
	v_addc_co_u32_e32 v6, vcc, 0, v6, vcc
	v_cmp_gt_i32_e32 vcc, 1, v2
	s_or_b64 s[28:29], vcc, s[28:29]
	s_waitcnt lgkmcnt(0)
	flat_store_byte v[8:9], v10 glc slc
	s_andn2_b64 exec, exec, s[28:29]
	s_cbranch_execnz .LBB6_880
.LBB6_881:                              ;   in Loop: Header=BB6_750 Depth=3
	s_or_b64 exec, exec, s[26:27]
	v_cmp_lt_i32_e64 s[26:27], 0, v0
	s_and_saveexec_b64 s[28:29], s[10:11]
	s_cbranch_execz .LBB6_826
.LBB6_882:                              ;   in Loop: Header=BB6_750 Depth=3
	s_and_saveexec_b64 s[40:41], s[56:57]
	s_xor_b64 s[40:41], exec, s[40:41]
	s_cbranch_execz .LBB6_897
; %bb.883:                              ;   in Loop: Header=BB6_750 Depth=3
	s_and_saveexec_b64 s[78:79], s[16:17]
	s_cbranch_execz .LBB6_896
; %bb.884:                              ;   in Loop: Header=BB6_750 Depth=3
	s_mov_b64 s[90:91], exec
	v_mbcnt_lo_u32_b32 v0, s90, 0
	v_mbcnt_hi_u32_b32 v0, s91, v0
	v_cmp_eq_u32_e32 vcc, 0, v0
	s_waitcnt vmcnt(0) lgkmcnt(0)
	buffer_wbinvl1_vol
	s_and_saveexec_b64 s[88:89], vcc
	s_cbranch_execz .LBB6_886
; %bb.885:                              ;   in Loop: Header=BB6_750 Depth=3
	s_bcnt1_i32_b64 s90, s[90:91]
	v_mov_b32_e32 v0, s90
	v_mov_b32_e32 v1, v51
	ds_add_u64 v0, v[0:1]
	s_trap 2
.LBB6_886:                              ;   in Loop: Header=BB6_750 Depth=3
	s_or_b64 exec, exec, s[88:89]
	s_trap 2
	ds_read_b64 v[0:1], v0
	s_waitcnt lgkmcnt(0)
	v_add_co_u32_e32 v56, vcc, v56, v53
	v_addc_co_u32_e32 v57, vcc, 0, v57, vcc
	v_cmp_lt_u64_e32 vcc, v[0:1], v[56:57]
	s_and_saveexec_b64 s[88:89], vcc
	s_cbranch_execz .LBB6_895
; %bb.887:                              ;   in Loop: Header=BB6_750 Depth=3
	s_mov_b32 s36, 0
	s_mov_b64 s[90:91], 0
                                        ; implicit-def: $sgpr92_sgpr93
                                        ; implicit-def: $sgpr94_sgpr95
	s_branch .LBB6_889
.LBB6_888:                              ;   in Loop: Header=BB6_889 Depth=4
	s_or_b64 exec, exec, s[34:35]
	s_and_b64 vcc, exec, vcc
	s_or_b64 s[90:91], vcc, s[90:91]
	s_andn2_b64 s[92:93], s[92:93], exec
	s_and_b64 vcc, s[94:95], exec
	s_or_b64 s[92:93], s[92:93], vcc
	s_andn2_b64 exec, exec, s[90:91]
	s_cbranch_execz .LBB6_893
.LBB6_889:                              ;   Parent Loop BB6_47 Depth=1
                                        ;     Parent Loop BB6_747 Depth=2
                                        ;       Parent Loop BB6_750 Depth=3
                                        ; =>      This Inner Loop Header: Depth=4
	s_add_i32 s36, s36, 1
	s_cmpk_lg_i32 s36, 0x2710
	s_cselect_b64 s[30:31], -1, 0
	s_and_b64 vcc, exec, s[30:31]
	s_cbranch_vccz .LBB6_891
; %bb.890:                              ;   in Loop: Header=BB6_889 Depth=4
	s_mov_b64 vcc, -1
	s_or_b64 s[94:95], s[94:95], exec
	s_and_saveexec_b64 s[34:35], s[30:31]
	s_cbranch_execz .LBB6_888
	s_branch .LBB6_892
.LBB6_891:                              ;   in Loop: Header=BB6_889 Depth=4
	s_trap 2
	ds_read_b64 v[0:1], v0
	s_andn2_b64 s[30:31], s[30:31], exec
	s_mov_b32 s36, 0
	s_waitcnt lgkmcnt(0)
	flat_load_dword v0, v[0:1] glc
	s_waitcnt vmcnt(0) lgkmcnt(0)
	buffer_wbinvl1_vol
	v_cmp_eq_u32_e32 vcc, 0, v0
	s_and_b64 vcc, vcc, exec
	s_or_b64 s[30:31], s[30:31], vcc
	s_mov_b64 vcc, -1
	s_or_b64 s[94:95], s[94:95], exec
	s_and_saveexec_b64 s[34:35], s[30:31]
	s_cbranch_execz .LBB6_888
.LBB6_892:                              ;   in Loop: Header=BB6_889 Depth=4
	s_sleep 1
	s_trap 2
	ds_read_b64 v[0:1], v0
	s_waitcnt lgkmcnt(0)
	s_andn2_b64 s[94:95], s[94:95], exec
	v_cmp_ge_u64_e32 vcc, v[0:1], v[56:57]
	s_orn2_b64 vcc, vcc, exec
	s_branch .LBB6_888
.LBB6_893:                              ;   in Loop: Header=BB6_750 Depth=3
	s_or_b64 exec, exec, s[90:91]
	s_and_saveexec_b64 s[90:91], s[92:93]
	s_xor_b64 s[90:91], exec, s[90:91]
	s_cbranch_execz .LBB6_895
; %bb.894:                              ;   in Loop: Header=BB6_750 Depth=3
	ds_write_b32 v0, v54
	s_trap 2
.LBB6_895:                              ;   in Loop: Header=BB6_750 Depth=3
	s_or_b64 exec, exec, s[88:89]
	;;#ASMSTART
	s_wakeup
	;;#ASMEND
.LBB6_896:                              ;   in Loop: Header=BB6_750 Depth=3
	s_or_b64 exec, exec, s[78:79]
.LBB6_897:                              ;   in Loop: Header=BB6_750 Depth=3
	s_andn2_saveexec_b64 s[40:41], s[40:41]
	s_cbranch_execz .LBB6_899
; %bb.898:                              ;   in Loop: Header=BB6_750 Depth=3
	s_waitcnt vmcnt(0) lgkmcnt(0)
	buffer_wbinvl1_vol
	s_barrier
.LBB6_899:                              ;   in Loop: Header=BB6_750 Depth=3
	s_or_b64 exec, exec, s[40:41]
	s_or_b64 exec, exec, s[28:29]
                                        ; implicit-def: $vgpr0
	s_and_saveexec_b64 s[28:29], s[24:25]
	s_xor_b64 s[28:29], exec, s[28:29]
	s_cbranch_execnz .LBB6_827
.LBB6_900:                              ;   in Loop: Header=BB6_750 Depth=3
	s_andn2_saveexec_b64 s[26:27], s[28:29]
	s_cbranch_execz .LBB6_919
.LBB6_901:                              ;   in Loop: Header=BB6_750 Depth=3
	s_and_saveexec_b64 s[28:29], s[56:57]
	s_xor_b64 s[28:29], exec, s[28:29]
	s_cbranch_execz .LBB6_916
; %bb.902:                              ;   in Loop: Header=BB6_750 Depth=3
	s_and_saveexec_b64 s[40:41], s[16:17]
	s_cbranch_execz .LBB6_915
; %bb.903:                              ;   in Loop: Header=BB6_750 Depth=3
	s_mov_b64 s[88:89], exec
	v_mbcnt_lo_u32_b32 v0, s88, 0
	v_mbcnt_hi_u32_b32 v0, s89, v0
	v_cmp_eq_u32_e32 vcc, 0, v0
	;;#ASMSTART
	s_waitcnt lgkmcnt(0) vmcnt(0)
	;;#ASMEND
	s_and_saveexec_b64 s[78:79], vcc
	s_cbranch_execz .LBB6_905
; %bb.904:                              ;   in Loop: Header=BB6_750 Depth=3
	s_bcnt1_i32_b64 s88, s[88:89]
	v_mov_b32_e32 v0, s88
	v_mov_b32_e32 v1, v51
	s_waitcnt lgkmcnt(0)
	ds_add_u64 v0, v[0:1]
	s_trap 2
.LBB6_905:                              ;   in Loop: Header=BB6_750 Depth=3
	s_or_b64 exec, exec, s[78:79]
	s_trap 2
	ds_read_b64 v[0:1], v0
	s_waitcnt vmcnt(0) lgkmcnt(0)
	v_add_co_u32_e32 v56, vcc, v56, v53
	v_addc_co_u32_e32 v57, vcc, 0, v57, vcc
	v_cmp_lt_u64_e32 vcc, v[0:1], v[56:57]
	s_and_saveexec_b64 s[78:79], vcc
	s_cbranch_execz .LBB6_914
; %bb.906:                              ;   in Loop: Header=BB6_750 Depth=3
	s_mov_b32 s34, 0
	s_mov_b64 s[88:89], 0
                                        ; implicit-def: $sgpr90_sgpr91
                                        ; implicit-def: $sgpr92_sgpr93
	s_branch .LBB6_908
.LBB6_907:                              ;   in Loop: Header=BB6_908 Depth=4
	s_or_b64 exec, exec, s[30:31]
	s_and_b64 s[94:95], exec, vcc
	s_or_b64 s[88:89], s[94:95], s[88:89]
	s_andn2_b64 s[90:91], s[90:91], exec
	s_and_b64 s[94:95], s[92:93], exec
	s_or_b64 s[90:91], s[90:91], s[94:95]
	s_andn2_b64 exec, exec, s[88:89]
	s_cbranch_execz .LBB6_912
.LBB6_908:                              ;   Parent Loop BB6_47 Depth=1
                                        ;     Parent Loop BB6_747 Depth=2
                                        ;       Parent Loop BB6_750 Depth=3
                                        ; =>      This Inner Loop Header: Depth=4
	s_add_i32 s34, s34, 1
	s_cmpk_lg_i32 s34, 0x2710
	s_cselect_b64 s[94:95], -1, 0
	s_and_b64 vcc, exec, s[94:95]
	s_cbranch_vccz .LBB6_910
; %bb.909:                              ;   in Loop: Header=BB6_908 Depth=4
	s_mov_b64 vcc, -1
	s_or_b64 s[92:93], s[92:93], exec
	s_and_saveexec_b64 s[30:31], s[94:95]
	s_cbranch_execz .LBB6_907
	s_branch .LBB6_911
.LBB6_910:                              ;   in Loop: Header=BB6_908 Depth=4
	s_trap 2
	ds_read_b64 v[0:1], v0
	s_andn2_b64 s[94:95], s[94:95], exec
	s_mov_b32 s34, 0
	s_waitcnt lgkmcnt(0)
	flat_load_dword v0, v[0:1] glc
	s_waitcnt vmcnt(0) lgkmcnt(0)
	buffer_wbinvl1_vol
	v_cmp_eq_u32_e32 vcc, 0, v0
	s_and_b64 vcc, vcc, exec
	s_or_b64 s[94:95], s[94:95], vcc
	s_mov_b64 vcc, -1
	s_or_b64 s[92:93], s[92:93], exec
	s_and_saveexec_b64 s[30:31], s[94:95]
	s_cbranch_execz .LBB6_907
.LBB6_911:                              ;   in Loop: Header=BB6_908 Depth=4
	s_sleep 1
	s_trap 2
	ds_read_b64 v[0:1], v0
	s_waitcnt lgkmcnt(0)
	s_andn2_b64 s[92:93], s[92:93], exec
	v_cmp_ge_u64_e32 vcc, v[0:1], v[56:57]
	s_orn2_b64 vcc, vcc, exec
	s_branch .LBB6_907
.LBB6_912:                              ;   in Loop: Header=BB6_750 Depth=3
	s_or_b64 exec, exec, s[88:89]
	s_and_saveexec_b64 s[88:89], s[90:91]
	s_xor_b64 s[88:89], exec, s[88:89]
	s_cbranch_execz .LBB6_914
; %bb.913:                              ;   in Loop: Header=BB6_750 Depth=3
	ds_write_b32 v0, v54
	s_trap 2
.LBB6_914:                              ;   in Loop: Header=BB6_750 Depth=3
	s_or_b64 exec, exec, s[78:79]
	;;#ASMSTART
	s_wakeup
	;;#ASMEND
.LBB6_915:                              ;   in Loop: Header=BB6_750 Depth=3
	s_or_b64 exec, exec, s[40:41]
.LBB6_916:                              ;   in Loop: Header=BB6_750 Depth=3
	s_andn2_saveexec_b64 s[28:29], s[28:29]
	s_cbranch_execz .LBB6_918
; %bb.917:                              ;   in Loop: Header=BB6_750 Depth=3
	;;#ASMSTART
	s_waitcnt lgkmcnt(0) vmcnt(0)
	;;#ASMEND
	s_waitcnt vmcnt(0) lgkmcnt(0)
	s_barrier
.LBB6_918:                              ;   in Loop: Header=BB6_750 Depth=3
	s_or_b64 exec, exec, s[28:29]
	v_and_b32_e32 v0, 16, v45
.LBB6_919:                              ;   in Loop: Header=BB6_750 Depth=3
	s_or_b64 exec, exec, s[26:27]
	v_cmp_ne_u32_e32 vcc, 0, v0
	s_xor_b64 s[26:27], s[12:13], -1
	s_and_b64 s[28:29], vcc, s[26:27]
	s_and_saveexec_b64 s[26:27], s[28:29]
	s_cbranch_execz .LBB6_921
; %bb.920:                              ;   in Loop: Header=BB6_750 Depth=3
	s_waitcnt vmcnt(0)
	flat_store_dword v[40:41], v54
.LBB6_921:                              ;   in Loop: Header=BB6_750 Depth=3
	s_or_b64 exec, exec, s[26:27]
	v_and_b32_e32 v0, 48, v45
	v_cmp_ne_u32_e32 vcc, 0, v0
	s_and_saveexec_b64 s[26:27], vcc
	s_cbranch_execz .LBB6_749
; %bb.922:                              ;   in Loop: Header=BB6_750 Depth=3
	s_waitcnt vmcnt(0)
	v_add_co_u32_e32 v15, vcc, 2, v15
	v_addc_co_u32_e32 v16, vcc, 0, v16, vcc
	flat_store_dwordx2 v[42:43], v[15:16]
	s_branch .LBB6_749
.LBB6_923:                              ;   in Loop: Header=BB6_747 Depth=2
	s_or_b64 exec, exec, s[74:75]
	buffer_load_dword v20, off, s[0:3], s33 offset:252 ; 4-byte Folded Reload
	buffer_load_dword v21, off, s[0:3], s33 offset:256 ; 4-byte Folded Reload
.LBB6_924:                              ;   in Loop: Header=BB6_747 Depth=2
	s_or_b64 exec, exec, s[42:43]
	v_cmp_gt_i32_e32 vcc, 2, v0
	s_and_saveexec_b64 s[28:29], vcc
	s_cbranch_execz .LBB6_1000
; %bb.925:                              ;   in Loop: Header=BB6_747 Depth=2
	v_cmp_eq_u32_e64 s[42:43], 0, v0
	s_mov_b64 s[40:41], 0
	s_branch .LBB6_927
.LBB6_926:                              ;   in Loop: Header=BB6_927 Depth=3
	s_or_b64 exec, exec, s[26:27]
	v_add_u32_e32 v19, v3, v19
	s_mov_b64 s[42:43], 0
	s_andn2_b64 exec, exec, s[40:41]
	s_cbranch_execz .LBB6_999
.LBB6_927:                              ;   Parent Loop BB6_47 Depth=1
                                        ;     Parent Loop BB6_747 Depth=2
                                        ; =>    This Loop Header: Depth=3
                                        ;         Child Loop BB6_933 Depth 4
                                        ;         Child Loop BB6_961 Depth 4
	;; [unrolled: 1-line block ×3, first 2 shown]
	v_sub_u32_e32 v0, v18, v19
	v_min_i32_e32 v3, v3, v0
	v_and_b32_e32 v0, 12, v45
	v_cmp_ne_u32_e32 vcc, 0, v0
	s_and_saveexec_b64 s[74:75], vcc
	s_cbranch_execz .LBB6_953
; %bb.928:                              ;   in Loop: Header=BB6_927 Depth=3
	v_and_b32_e32 v0, 8, v45
	s_waitcnt vmcnt(0) lgkmcnt(0)
	v_add_co_u32_e32 v1, vcc, v37, v0
	v_addc_co_u32_e32 v2, vcc, 0, v38, vcc
	v_add_co_u32_e32 v8, vcc, 2, v15
	v_addc_co_u32_e32 v9, vcc, 0, v16, vcc
	v_cmp_lt_u64_e32 vcc, v[1:2], v[8:9]
	s_and_saveexec_b64 s[76:77], vcc
	s_cbranch_execz .LBB6_940
; %bb.929:                              ;   in Loop: Header=BB6_927 Depth=3
	v_and_b32_e32 v1, 64, v45
	s_mov_b32 s49, 0
	v_cmp_eq_u32_e32 vcc, 0, v1
	s_mov_b64 s[78:79], 0
                                        ; implicit-def: $sgpr88_sgpr89
                                        ; implicit-def: $sgpr90_sgpr91
                                        ; implicit-def: $sgpr92_sgpr93
	s_branch .LBB6_933
.LBB6_930:                              ;   in Loop: Header=BB6_933 Depth=4
	s_waitcnt vmcnt(0) lgkmcnt(0)
	v_add_co_u32_e64 v4, s[26:27], v37, v0
	v_addc_co_u32_e64 v5, s[26:27], 0, v38, s[26:27]
	v_cmp_ge_u64_e64 s[26:27], v[4:5], v[8:9]
	s_or_b64 s[34:35], s[34:35], exec
	s_orn2_b64 s[30:31], s[26:27], exec
.LBB6_931:                              ;   in Loop: Header=BB6_933 Depth=4
	s_or_b64 exec, exec, s[38:39]
	s_andn2_b64 s[26:27], s[92:93], exec
	s_and_b64 s[92:93], s[34:35], exec
	s_or_b64 s[92:93], s[26:27], s[92:93]
	s_andn2_b64 s[26:27], s[90:91], exec
	s_and_b64 s[90:91], s[30:31], exec
	s_or_b64 s[90:91], s[26:27], s[90:91]
.LBB6_932:                              ;   in Loop: Header=BB6_933 Depth=4
	s_or_b64 exec, exec, s[94:95]
	s_and_b64 s[26:27], exec, s[90:91]
	s_or_b64 s[78:79], s[26:27], s[78:79]
	s_andn2_b64 s[26:27], s[88:89], exec
	s_and_b64 s[88:89], s[92:93], exec
	s_or_b64 s[88:89], s[26:27], s[88:89]
	s_andn2_b64 exec, exec, s[78:79]
	s_cbranch_execz .LBB6_937
.LBB6_933:                              ;   Parent Loop BB6_47 Depth=1
                                        ;     Parent Loop BB6_747 Depth=2
                                        ;       Parent Loop BB6_927 Depth=3
                                        ; =>      This Inner Loop Header: Depth=4
	s_sleep 1
	s_waitcnt vmcnt(0) lgkmcnt(0)
	flat_load_dwordx2 v[37:38], v[42:43] glc
	s_or_b64 s[92:93], s[92:93], exec
	s_or_b64 s[90:91], s[90:91], exec
                                        ; implicit-def: $vgpr1
	s_and_saveexec_b64 s[94:95], vcc
	s_cbranch_execz .LBB6_932
; %bb.934:                              ;   in Loop: Header=BB6_933 Depth=4
	s_cmpk_lt_i32 s49, 0x270f
	s_cselect_b64 s[36:37], -1, 0
	s_cmpk_gt_i32 s49, 0x270e
	s_mov_b64 s[30:31], -1
	s_cbranch_scc0 .LBB6_936
; %bb.935:                              ;   in Loop: Header=BB6_933 Depth=4
	s_trap 2
	ds_read_b64 v[1:2], v0
	s_andn2_b64 s[36:37], s[36:37], exec
	s_mov_b32 s49, 0
	s_mov_b64 s[34:35], 0
	s_waitcnt vmcnt(0) lgkmcnt(0)
	flat_load_dword v1, v[1:2] glc
	s_waitcnt vmcnt(0) lgkmcnt(0)
	buffer_wbinvl1_vol
	v_cmp_eq_u32_e64 s[26:27], 0, v1
	s_and_b64 s[26:27], s[26:27], exec
	s_or_b64 s[36:37], s[36:37], s[26:27]
	s_and_saveexec_b64 s[38:39], s[36:37]
	s_cbranch_execz .LBB6_931
	s_branch .LBB6_930
.LBB6_936:                              ;   in Loop: Header=BB6_933 Depth=4
	s_add_i32 s49, s49, 1
	s_mov_b64 s[34:35], -1
                                        ; implicit-def: $vgpr1
	s_and_saveexec_b64 s[38:39], s[36:37]
	s_cbranch_execz .LBB6_931
	s_branch .LBB6_930
.LBB6_937:                              ;   in Loop: Header=BB6_927 Depth=3
	s_or_b64 exec, exec, s[78:79]
	s_xor_b64 s[26:27], s[88:89], -1
	s_and_saveexec_b64 s[78:79], s[26:27]
	s_xor_b64 s[26:27], exec, s[78:79]
	s_cbranch_execz .LBB6_939
; %bb.938:                              ;   in Loop: Header=BB6_927 Depth=3
	v_or_b32_e32 v45, 64, v45
	s_waitcnt lgkmcnt(0)
	ds_write_b32 v0, v1
	s_trap 2
.LBB6_939:                              ;   in Loop: Header=BB6_927 Depth=3
	s_or_b64 exec, exec, s[26:27]
.LBB6_940:                              ;   in Loop: Header=BB6_927 Depth=3
	s_or_b64 exec, exec, s[76:77]
	v_and_b32_e32 v1, 0x108, v45
	v_cmp_ne_u32_e32 vcc, s55, v1
	;;#ASMSTART
	s_wakeup
	;;#ASMEND
                                        ; implicit-def: $vgpr10_vgpr11
	s_and_saveexec_b64 s[26:27], vcc
	s_xor_b64 s[26:27], exec, s[26:27]
; %bb.941:                              ;   in Loop: Header=BB6_927 Depth=3
	v_and_b32_e32 v10, 7, v15
	v_mov_b32_e32 v11, v51
                                        ; implicit-def: $vgpr15_vgpr16
; %bb.942:                              ;   in Loop: Header=BB6_927 Depth=3
	s_andn2_saveexec_b64 s[26:27], s[26:27]
	s_cbranch_execz .LBB6_944
; %bb.943:                              ;   in Loop: Header=BB6_927 Depth=3
	buffer_load_dword v4, off, s[0:3], s33 offset:120 ; 4-byte Folded Reload
	buffer_load_dword v5, off, s[0:3], s33 offset:124 ; 4-byte Folded Reload
	;; [unrolled: 1-line block ×4, first 2 shown]
	v_and_b32_e32 v10, 7, v15
	v_mov_b32_e32 v11, v51
	s_waitcnt vmcnt(0)
	v_mad_u64_u32 v[1:2], s[76:77], v10, 24, v[4:5]
	v_ashrrev_i32_e32 v4, 31, v3
	flat_store_dwordx2 v[1:2], v[3:4] offset:8
.LBB6_944:                              ;   in Loop: Header=BB6_927 Depth=3
	s_or_b64 exec, exec, s[26:27]
	v_and_b32_e32 v1, 0x100, v45
	v_cmp_ne_u32_e32 vcc, 0, v1
	s_mov_b64 s[26:27], -1
                                        ; implicit-def: $vgpr4_vgpr5
	s_and_saveexec_b64 s[76:77], vcc
	s_cbranch_execz .LBB6_948
; %bb.945:                              ;   in Loop: Header=BB6_927 Depth=3
	buffer_load_dword v4, off, s[0:3], s33 offset:120 ; 4-byte Folded Reload
	buffer_load_dword v5, off, s[0:3], s33 offset:124 ; 4-byte Folded Reload
	;; [unrolled: 1-line block ×4, first 2 shown]
	s_waitcnt vmcnt(0)
	v_mad_u64_u32 v[12:13], s[26:27], v10, 24, v[4:5]
                                        ; implicit-def: $vgpr4_vgpr5
	v_mov_b32_e32 v1, v13
	v_mad_u64_u32 v[1:2], s[26:27], v11, 24, v[1:2]
	v_mov_b32_e32 v13, v1
	flat_load_dword v1, v[12:13]
	s_waitcnt vmcnt(0) lgkmcnt(0)
	v_cmp_ne_u32_e32 vcc, 1, v1
	v_cmp_eq_u32_e64 s[26:27], 1, v1
	s_and_saveexec_b64 s[78:79], s[26:27]
	s_cbranch_execz .LBB6_947
; %bb.946:                              ;   in Loop: Header=BB6_927 Depth=3
	flat_load_dword v4, v[12:13] offset:4 glc
	s_waitcnt vmcnt(0) lgkmcnt(0)
	v_ashrrev_i32_e32 v5, 31, v4
.LBB6_947:                              ;   in Loop: Header=BB6_927 Depth=3
	s_or_b64 exec, exec, s[78:79]
	s_orn2_b64 s[26:27], vcc, exec
.LBB6_948:                              ;   in Loop: Header=BB6_927 Depth=3
	s_or_b64 exec, exec, s[76:77]
	s_and_saveexec_b64 s[76:77], s[26:27]
	s_cbranch_execz .LBB6_950
; %bb.949:                              ;   in Loop: Header=BB6_927 Depth=3
	buffer_load_dword v4, off, s[0:3], s33 offset:144 ; 4-byte Folded Reload
	v_mul_lo_u32 v2, v10, v39
	s_waitcnt vmcnt(0)
	v_mul_lo_u32 v1, v11, v4
	v_mad_u64_u32 v[4:5], s[26:27], v10, v4, 0
	v_add3_u32 v5, v5, v2, v1
.LBB6_950:                              ;   in Loop: Header=BB6_927 Depth=3
	s_or_b64 exec, exec, s[76:77]
	v_cmp_eq_u32_e32 vcc, 0, v0
	v_mov_b32_e32 v0, 0xd0
	v_mov_b32_e32 v1, 0x88
	v_cndmask_b32_e32 v2, v0, v1, vcc
	v_add_co_u32_e32 v0, vcc, v48, v4
	v_addc_co_u32_e32 v1, vcc, v49, v5, vcc
	v_add_u32_e32 v2, v0, v2
	ds_write_b64 v2, v[0:1] offset:584
	v_and_b32_e32 v0, 0x2000, v45
	v_cmp_ne_u32_e32 vcc, 0, v0
	s_and_saveexec_b64 s[26:27], vcc
	s_cbranch_execz .LBB6_952
; %bb.951:                              ;   in Loop: Header=BB6_927 Depth=3
	ds_read_b64 v[0:1], v0 offset:872
	s_waitcnt lgkmcnt(0)
	v_add_co_u32_e32 v0, vcc, 1, v0
	v_addc_co_u32_e32 v1, vcc, 0, v1, vcc
	ds_write_b64 v0, v[0:1] offset:872
.LBB6_952:                              ;   in Loop: Header=BB6_927 Depth=3
	s_or_b64 exec, exec, s[26:27]
	v_mov_b32_e32 v16, v9
	v_mov_b32_e32 v15, v8
.LBB6_953:                              ;   in Loop: Header=BB6_927 Depth=3
	s_or_b64 exec, exec, s[74:75]
	s_xor_b64 s[26:27], s[42:43], -1
	s_and_b64 s[26:27], exec, s[26:27]
	s_or_b64 s[40:41], s[26:27], s[40:41]
	s_and_saveexec_b64 s[26:27], s[10:11]
	s_cbranch_execz .LBB6_972
; %bb.954:                              ;   in Loop: Header=BB6_927 Depth=3
	s_and_saveexec_b64 s[42:43], s[56:57]
	s_xor_b64 s[42:43], exec, s[42:43]
	s_cbranch_execz .LBB6_969
; %bb.955:                              ;   in Loop: Header=BB6_927 Depth=3
	s_and_saveexec_b64 s[74:75], s[16:17]
	s_cbranch_execz .LBB6_968
; %bb.956:                              ;   in Loop: Header=BB6_927 Depth=3
	s_mov_b64 s[78:79], exec
	v_mbcnt_lo_u32_b32 v0, s78, 0
	v_mbcnt_hi_u32_b32 v0, s79, v0
	v_cmp_eq_u32_e32 vcc, 0, v0
	s_waitcnt vmcnt(0) lgkmcnt(0)
	buffer_wbinvl1_vol
	s_and_saveexec_b64 s[76:77], vcc
	s_cbranch_execz .LBB6_958
; %bb.957:                              ;   in Loop: Header=BB6_927 Depth=3
	s_bcnt1_i32_b64 s78, s[78:79]
	v_mov_b32_e32 v0, s78
	v_mov_b32_e32 v1, v51
	ds_add_u64 v0, v[0:1]
	s_trap 2
.LBB6_958:                              ;   in Loop: Header=BB6_927 Depth=3
	s_or_b64 exec, exec, s[76:77]
	s_trap 2
	ds_read_b64 v[0:1], v0
	s_waitcnt lgkmcnt(0)
	v_add_co_u32_e32 v56, vcc, v56, v53
	v_addc_co_u32_e32 v57, vcc, 0, v57, vcc
	v_cmp_lt_u64_e32 vcc, v[0:1], v[56:57]
	s_and_saveexec_b64 s[76:77], vcc
	s_cbranch_execz .LBB6_967
; %bb.959:                              ;   in Loop: Header=BB6_927 Depth=3
	s_mov_b32 s30, 0
	s_mov_b64 s[78:79], 0
                                        ; implicit-def: $sgpr88_sgpr89
                                        ; implicit-def: $sgpr90_sgpr91
	s_branch .LBB6_961
.LBB6_960:                              ;   in Loop: Header=BB6_961 Depth=4
	s_or_b64 exec, exec, s[94:95]
	s_and_b64 s[92:93], exec, vcc
	s_or_b64 s[78:79], s[92:93], s[78:79]
	s_andn2_b64 s[88:89], s[88:89], exec
	s_and_b64 s[92:93], s[90:91], exec
	s_or_b64 s[88:89], s[88:89], s[92:93]
	s_andn2_b64 exec, exec, s[78:79]
	s_cbranch_execz .LBB6_965
.LBB6_961:                              ;   Parent Loop BB6_47 Depth=1
                                        ;     Parent Loop BB6_747 Depth=2
                                        ;       Parent Loop BB6_927 Depth=3
                                        ; =>      This Inner Loop Header: Depth=4
	s_add_i32 s30, s30, 1
	s_cmpk_lg_i32 s30, 0x2710
	s_cselect_b64 s[92:93], -1, 0
	s_and_b64 vcc, exec, s[92:93]
	s_cbranch_vccz .LBB6_963
; %bb.962:                              ;   in Loop: Header=BB6_961 Depth=4
	s_mov_b64 vcc, -1
	s_or_b64 s[90:91], s[90:91], exec
	s_and_saveexec_b64 s[94:95], s[92:93]
	s_cbranch_execz .LBB6_960
	s_branch .LBB6_964
.LBB6_963:                              ;   in Loop: Header=BB6_961 Depth=4
	s_trap 2
	ds_read_b64 v[0:1], v0
	s_andn2_b64 s[92:93], s[92:93], exec
	s_mov_b32 s30, 0
	s_waitcnt lgkmcnt(0)
	flat_load_dword v0, v[0:1] glc
	s_waitcnt vmcnt(0) lgkmcnt(0)
	buffer_wbinvl1_vol
	v_cmp_eq_u32_e32 vcc, 0, v0
	s_and_b64 s[94:95], vcc, exec
	s_or_b64 s[92:93], s[92:93], s[94:95]
	s_mov_b64 vcc, -1
	s_or_b64 s[90:91], s[90:91], exec
	s_and_saveexec_b64 s[94:95], s[92:93]
	s_cbranch_execz .LBB6_960
.LBB6_964:                              ;   in Loop: Header=BB6_961 Depth=4
	s_sleep 1
	s_trap 2
	ds_read_b64 v[0:1], v0
	s_waitcnt lgkmcnt(0)
	s_andn2_b64 s[90:91], s[90:91], exec
	v_cmp_ge_u64_e32 vcc, v[0:1], v[56:57]
	s_orn2_b64 vcc, vcc, exec
	s_branch .LBB6_960
.LBB6_965:                              ;   in Loop: Header=BB6_927 Depth=3
	s_or_b64 exec, exec, s[78:79]
	s_and_saveexec_b64 s[78:79], s[88:89]
	s_xor_b64 s[78:79], exec, s[78:79]
	s_cbranch_execz .LBB6_967
; %bb.966:                              ;   in Loop: Header=BB6_927 Depth=3
	ds_write_b32 v0, v54
	s_trap 2
.LBB6_967:                              ;   in Loop: Header=BB6_927 Depth=3
	s_or_b64 exec, exec, s[76:77]
	;;#ASMSTART
	s_wakeup
	;;#ASMEND
.LBB6_968:                              ;   in Loop: Header=BB6_927 Depth=3
	s_or_b64 exec, exec, s[74:75]
.LBB6_969:                              ;   in Loop: Header=BB6_927 Depth=3
	s_andn2_saveexec_b64 s[42:43], s[42:43]
	s_cbranch_execz .LBB6_971
; %bb.970:                              ;   in Loop: Header=BB6_927 Depth=3
	s_waitcnt vmcnt(0) lgkmcnt(0)
	buffer_wbinvl1_vol
	s_barrier
.LBB6_971:                              ;   in Loop: Header=BB6_927 Depth=3
	s_or_b64 exec, exec, s[42:43]
.LBB6_972:                              ;   in Loop: Header=BB6_927 Depth=3
	s_or_b64 exec, exec, s[26:27]
                                        ; implicit-def: $vgpr0
	s_and_saveexec_b64 s[26:27], s[24:25]
	s_xor_b64 s[26:27], exec, s[26:27]
	s_cbranch_execz .LBB6_976
; %bb.973:                              ;   in Loop: Header=BB6_927 Depth=3
	s_trap 2
	ds_read_b32 v0, v0
	v_cmp_lt_i32_e32 vcc, 0, v3
	v_and_b32_e32 v1, 16, v45
	s_waitcnt lgkmcnt(0)
	v_readfirstlane_b32 s42, v0
	s_cmp_eq_u32 s42, 0
	s_cselect_b64 s[42:43], -1, 0
	s_and_b64 s[42:43], vcc, s[42:43]
	v_cmp_ne_u32_e32 vcc, 0, v1
	v_and_b32_e32 v0, 16, v45
	s_and_b64 s[74:75], vcc, s[42:43]
	s_and_saveexec_b64 s[42:43], s[74:75]
	s_cbranch_execz .LBB6_975
; %bb.974:                              ;   in Loop: Header=BB6_927 Depth=3
	v_mov_b32_e32 v0, 1
	s_waitcnt vmcnt(0)
	buffer_wbinvl1_vol
.LBB6_975:                              ;   in Loop: Header=BB6_927 Depth=3
	s_or_b64 exec, exec, s[42:43]
	s_andn2_saveexec_b64 s[26:27], s[26:27]
	s_cbranch_execz .LBB6_995
	s_branch .LBB6_977
.LBB6_976:                              ;   in Loop: Header=BB6_927 Depth=3
	s_andn2_saveexec_b64 s[26:27], s[26:27]
	s_cbranch_execz .LBB6_995
.LBB6_977:                              ;   in Loop: Header=BB6_927 Depth=3
	s_and_saveexec_b64 s[42:43], s[56:57]
	s_xor_b64 s[42:43], exec, s[42:43]
	s_cbranch_execz .LBB6_992
; %bb.978:                              ;   in Loop: Header=BB6_927 Depth=3
	s_and_saveexec_b64 s[74:75], s[16:17]
	s_cbranch_execz .LBB6_991
; %bb.979:                              ;   in Loop: Header=BB6_927 Depth=3
	s_mov_b64 s[78:79], exec
	v_mbcnt_lo_u32_b32 v0, s78, 0
	v_mbcnt_hi_u32_b32 v0, s79, v0
	v_cmp_eq_u32_e32 vcc, 0, v0
	;;#ASMSTART
	s_waitcnt lgkmcnt(0) vmcnt(0)
	;;#ASMEND
	s_and_saveexec_b64 s[76:77], vcc
	s_cbranch_execz .LBB6_981
; %bb.980:                              ;   in Loop: Header=BB6_927 Depth=3
	s_bcnt1_i32_b64 s78, s[78:79]
	v_mov_b32_e32 v0, s78
	v_mov_b32_e32 v1, v51
	s_waitcnt lgkmcnt(0)
	ds_add_u64 v0, v[0:1]
	s_trap 2
.LBB6_981:                              ;   in Loop: Header=BB6_927 Depth=3
	s_or_b64 exec, exec, s[76:77]
	s_trap 2
	ds_read_b64 v[0:1], v0
	s_waitcnt vmcnt(0) lgkmcnt(0)
	v_add_co_u32_e32 v56, vcc, v56, v53
	v_addc_co_u32_e32 v57, vcc, 0, v57, vcc
	v_cmp_lt_u64_e32 vcc, v[0:1], v[56:57]
	s_and_saveexec_b64 s[76:77], vcc
	s_cbranch_execz .LBB6_990
; %bb.982:                              ;   in Loop: Header=BB6_927 Depth=3
	s_mov_b32 s30, 0
	s_mov_b64 s[78:79], 0
                                        ; implicit-def: $sgpr88_sgpr89
                                        ; implicit-def: $sgpr90_sgpr91
	s_branch .LBB6_984
.LBB6_983:                              ;   in Loop: Header=BB6_984 Depth=4
	s_or_b64 exec, exec, s[94:95]
	s_and_b64 s[92:93], exec, vcc
	s_or_b64 s[78:79], s[92:93], s[78:79]
	s_andn2_b64 s[88:89], s[88:89], exec
	s_and_b64 s[92:93], s[90:91], exec
	s_or_b64 s[88:89], s[88:89], s[92:93]
	s_andn2_b64 exec, exec, s[78:79]
	s_cbranch_execz .LBB6_988
.LBB6_984:                              ;   Parent Loop BB6_47 Depth=1
                                        ;     Parent Loop BB6_747 Depth=2
                                        ;       Parent Loop BB6_927 Depth=3
                                        ; =>      This Inner Loop Header: Depth=4
	s_add_i32 s30, s30, 1
	s_cmpk_lg_i32 s30, 0x2710
	s_cselect_b64 s[92:93], -1, 0
	s_and_b64 vcc, exec, s[92:93]
	s_cbranch_vccz .LBB6_986
; %bb.985:                              ;   in Loop: Header=BB6_984 Depth=4
	s_mov_b64 vcc, -1
	s_or_b64 s[90:91], s[90:91], exec
	s_and_saveexec_b64 s[94:95], s[92:93]
	s_cbranch_execz .LBB6_983
	s_branch .LBB6_987
.LBB6_986:                              ;   in Loop: Header=BB6_984 Depth=4
	s_trap 2
	ds_read_b64 v[0:1], v0
	s_andn2_b64 s[92:93], s[92:93], exec
	s_mov_b32 s30, 0
	s_waitcnt lgkmcnt(0)
	flat_load_dword v0, v[0:1] glc
	s_waitcnt vmcnt(0) lgkmcnt(0)
	buffer_wbinvl1_vol
	v_cmp_eq_u32_e32 vcc, 0, v0
	s_and_b64 s[94:95], vcc, exec
	s_or_b64 s[92:93], s[92:93], s[94:95]
	s_mov_b64 vcc, -1
	s_or_b64 s[90:91], s[90:91], exec
	s_and_saveexec_b64 s[94:95], s[92:93]
	s_cbranch_execz .LBB6_983
.LBB6_987:                              ;   in Loop: Header=BB6_984 Depth=4
	s_sleep 1
	s_trap 2
	ds_read_b64 v[0:1], v0
	s_waitcnt lgkmcnt(0)
	s_andn2_b64 s[90:91], s[90:91], exec
	v_cmp_ge_u64_e32 vcc, v[0:1], v[56:57]
	s_orn2_b64 vcc, vcc, exec
	s_branch .LBB6_983
.LBB6_988:                              ;   in Loop: Header=BB6_927 Depth=3
	s_or_b64 exec, exec, s[78:79]
	s_and_saveexec_b64 s[78:79], s[88:89]
	s_xor_b64 s[78:79], exec, s[78:79]
	s_cbranch_execz .LBB6_990
; %bb.989:                              ;   in Loop: Header=BB6_927 Depth=3
	ds_write_b32 v0, v54
	s_trap 2
.LBB6_990:                              ;   in Loop: Header=BB6_927 Depth=3
	s_or_b64 exec, exec, s[76:77]
	;;#ASMSTART
	s_wakeup
	;;#ASMEND
.LBB6_991:                              ;   in Loop: Header=BB6_927 Depth=3
	s_or_b64 exec, exec, s[74:75]
.LBB6_992:                              ;   in Loop: Header=BB6_927 Depth=3
	s_andn2_saveexec_b64 s[42:43], s[42:43]
	s_cbranch_execz .LBB6_994
; %bb.993:                              ;   in Loop: Header=BB6_927 Depth=3
	;;#ASMSTART
	s_waitcnt lgkmcnt(0) vmcnt(0)
	;;#ASMEND
	s_waitcnt vmcnt(0) lgkmcnt(0)
	s_barrier
.LBB6_994:                              ;   in Loop: Header=BB6_927 Depth=3
	s_or_b64 exec, exec, s[42:43]
	v_and_b32_e32 v0, 16, v45
.LBB6_995:                              ;   in Loop: Header=BB6_927 Depth=3
	s_or_b64 exec, exec, s[26:27]
	v_cmp_ne_u32_e32 vcc, 0, v0
	s_xor_b64 s[26:27], s[12:13], -1
	s_and_b64 s[42:43], vcc, s[26:27]
	s_and_saveexec_b64 s[26:27], s[42:43]
	s_cbranch_execz .LBB6_997
; %bb.996:                              ;   in Loop: Header=BB6_927 Depth=3
	s_waitcnt vmcnt(0)
	flat_store_dword v[40:41], v54
.LBB6_997:                              ;   in Loop: Header=BB6_927 Depth=3
	s_or_b64 exec, exec, s[26:27]
	v_and_b32_e32 v0, 48, v45
	v_cmp_ne_u32_e32 vcc, 0, v0
	s_and_saveexec_b64 s[26:27], vcc
	s_cbranch_execz .LBB6_926
; %bb.998:                              ;   in Loop: Header=BB6_927 Depth=3
	s_waitcnt vmcnt(0)
	v_add_co_u32_e32 v15, vcc, 2, v15
	v_addc_co_u32_e32 v16, vcc, 0, v16, vcc
	flat_store_dwordx2 v[42:43], v[15:16]
	s_branch .LBB6_926
.LBB6_999:                              ;   in Loop: Header=BB6_747 Depth=2
	s_or_b64 exec, exec, s[40:41]
.LBB6_1000:                             ;   in Loop: Header=BB6_747 Depth=2
	s_or_b64 exec, exec, s[28:29]
	s_add_i32 s26, s48, 1
	v_readlane_b32 s27, v62, 18
	s_cmp_eq_u32 s48, s27
	s_cbranch_scc1 .LBB6_1002
; %bb.1001:                             ;   in Loop: Header=BB6_747 Depth=2
	s_mov_b32 s48, s26
	s_branch .LBB6_747
.LBB6_1002:                             ;   in Loop: Header=BB6_47 Depth=1
	buffer_load_dword v5, off, s[0:3], s33 offset:352 ; 4-byte Folded Reload
	buffer_load_dword v6, off, s[0:3], s33 offset:356 ; 4-byte Folded Reload
	v_readlane_b32 s26, v62, 19
	v_readlane_b32 s27, v62, 20
	v_mov_b32_e32 v7, 0
	s_waitcnt vmcnt(0)
	v_mul_lo_u32 v1, v5, s27
	v_mul_lo_u32 v0, v6, s26
	v_mad_u64_u32 v[3:4], s[26:27], v5, s26, 0
	v_add3_u32 v4, v4, v1, v0
	buffer_load_dword v0, off, s[0:3], s33 offset:344 ; 4-byte Folded Reload
	buffer_load_dword v1, off, s[0:3], s33 offset:348 ; 4-byte Folded Reload
	s_waitcnt vmcnt(0)
	v_sub_co_u32_e32 v0, vcc, v0, v3
	v_subb_co_u32_e32 v1, vcc, v1, v4, vcc
	v_cmp_lt_i64_e32 vcc, v[5:6], v[0:1]
	v_mov_b32_e32 v1, 0
	v_cndmask_b32_e32 v2, v0, v5, vcc
	v_max_i32_e32 v0, 0, v2
	v_add_u32_e32 v5, 31, v0
	v_lshrrev_b32_e32 v5, 1, v5
	v_and_b32_e32 v5, 0x3ffffff0, v5
	v_cmp_lt_i32_e32 vcc, 0, v2
	v_max_i32_e32 v5, s98, v5
	s_and_b64 s[26:27], s[72:73], vcc
	s_and_saveexec_b64 s[28:29], s[26:27]
	s_cbranch_execz .LBB6_1140
; %bb.1003:                             ;   in Loop: Header=BB6_47 Depth=1
	buffer_load_dword v1, off, s[0:3], s33 offset:176 ; 4-byte Folded Reload
	s_mov_b32 s48, 1
	s_mov_b64 s[42:43], -1
	v_mov_b32_e32 v7, 0
	s_mov_b64 s[40:41], 0
	s_waitcnt vmcnt(0)
	v_add_co_u32_e32 v6, vcc, v3, v1
	buffer_load_dword v1, off, s[0:3], s33 offset:180 ; 4-byte Folded Reload
	s_waitcnt vmcnt(0)
	v_addc_co_u32_e32 v14, vcc, v4, v1, vcc
	s_branch .LBB6_1005
.LBB6_1004:                             ;   in Loop: Header=BB6_1005 Depth=2
	s_or_b64 exec, exec, s[26:27]
	v_add_u32_e32 v7, v5, v7
	v_cmp_ge_i32_e32 vcc, v7, v0
	s_xor_b64 s[26:27], s[42:43], -1
	s_or_b64 s[26:27], s[26:27], vcc
	s_and_b64 s[26:27], exec, s[26:27]
	s_or_b64 s[40:41], s[26:27], s[40:41]
	s_mov_b64 s[42:43], 0
	v_mov_b32_e32 v1, s48
	s_mov_b32 s48, 2
	s_andn2_b64 exec, exec, s[40:41]
	s_cbranch_execz .LBB6_1139
.LBB6_1005:                             ;   Parent Loop BB6_47 Depth=1
                                        ; =>  This Loop Header: Depth=2
                                        ;       Child Loop BB6_1013 Depth 3
                                        ;       Child Loop BB6_1037 Depth 3
	;; [unrolled: 1-line block ×9, first 2 shown]
	s_and_saveexec_b64 s[26:27], s[4:5]
	s_cbranch_execz .LBB6_1007
; %bb.1006:                             ;   in Loop: Header=BB6_1005 Depth=2
	s_trap 2
	ds_read_b128 v[1:4], v0
	v_ashrrev_i32_e32 v8, 31, v7
	s_waitcnt lgkmcnt(0)
	v_add_co_u32_e32 v1, vcc, v1, v6
	v_addc_co_u32_e32 v2, vcc, v2, v14, vcc
	v_add_co_u32_e32 v1, vcc, v1, v7
	v_addc_co_u32_e32 v2, vcc, v2, v8, vcc
	ds_write_b64 v0, v[1:2]
	v_add_co_u32_e32 v1, vcc, v3, v6
	v_addc_co_u32_e32 v2, vcc, v4, v14, vcc
	v_add_co_u32_e32 v1, vcc, v1, v7
	v_addc_co_u32_e32 v2, vcc, v2, v8, vcc
	v_cmp_ne_u64_e32 vcc, 0, v[3:4]
	v_cndmask_b32_e32 v2, 0, v2, vcc
	v_cndmask_b32_e32 v1, 0, v1, vcc
	ds_write_b64 v0, v[1:2]
.LBB6_1007:                             ;   in Loop: Header=BB6_1005 Depth=2
	s_or_b64 exec, exec, s[26:27]
	v_and_b32_e32 v1, 4, v45
	v_cmp_ne_u32_e32 vcc, 0, v1
	s_and_saveexec_b64 s[74:75], vcc
	s_cbranch_execz .LBB6_1029
; %bb.1008:                             ;   in Loop: Header=BB6_1005 Depth=2
	v_add_co_u32_e32 v3, vcc, 2, v15
	v_addc_co_u32_e32 v4, vcc, 0, v16, vcc
	s_waitcnt vmcnt(0) lgkmcnt(0)
	v_cmp_lt_u64_e32 vcc, v[37:38], v[3:4]
	s_and_saveexec_b64 s[76:77], vcc
	s_cbranch_execz .LBB6_1020
; %bb.1009:                             ;   in Loop: Header=BB6_1005 Depth=2
	v_and_b32_e32 v1, 64, v45
	s_mov_b32 s49, 0
	v_cmp_eq_u32_e32 vcc, 0, v1
	s_mov_b64 s[78:79], 0
                                        ; implicit-def: $sgpr88_sgpr89
                                        ; implicit-def: $sgpr90_sgpr91
                                        ; implicit-def: $sgpr92_sgpr93
	s_branch .LBB6_1013
.LBB6_1010:                             ;   in Loop: Header=BB6_1013 Depth=3
	s_waitcnt vmcnt(0) lgkmcnt(0)
	v_cmp_ge_u64_e64 s[26:27], v[37:38], v[3:4]
	s_or_b64 s[34:35], s[34:35], exec
	s_orn2_b64 s[30:31], s[26:27], exec
.LBB6_1011:                             ;   in Loop: Header=BB6_1013 Depth=3
	s_or_b64 exec, exec, s[38:39]
	s_andn2_b64 s[26:27], s[92:93], exec
	s_and_b64 s[92:93], s[34:35], exec
	s_or_b64 s[92:93], s[26:27], s[92:93]
	s_andn2_b64 s[26:27], s[90:91], exec
	s_and_b64 s[90:91], s[30:31], exec
	s_or_b64 s[90:91], s[26:27], s[90:91]
.LBB6_1012:                             ;   in Loop: Header=BB6_1013 Depth=3
	s_or_b64 exec, exec, s[94:95]
	s_and_b64 s[26:27], exec, s[90:91]
	s_or_b64 s[78:79], s[26:27], s[78:79]
	s_andn2_b64 s[26:27], s[88:89], exec
	s_and_b64 s[88:89], s[92:93], exec
	s_or_b64 s[88:89], s[26:27], s[88:89]
	s_andn2_b64 exec, exec, s[78:79]
	s_cbranch_execz .LBB6_1017
.LBB6_1013:                             ;   Parent Loop BB6_47 Depth=1
                                        ;     Parent Loop BB6_1005 Depth=2
                                        ; =>    This Inner Loop Header: Depth=3
	s_sleep 1
	s_waitcnt vmcnt(0) lgkmcnt(0)
	flat_load_dwordx2 v[37:38], v[42:43] glc
	s_or_b64 s[92:93], s[92:93], exec
	s_or_b64 s[90:91], s[90:91], exec
                                        ; implicit-def: $vgpr1
	s_and_saveexec_b64 s[94:95], vcc
	s_cbranch_execz .LBB6_1012
; %bb.1014:                             ;   in Loop: Header=BB6_1013 Depth=3
	s_cmpk_lt_i32 s49, 0x270f
	s_cselect_b64 s[36:37], -1, 0
	s_cmpk_gt_i32 s49, 0x270e
	s_mov_b64 s[30:31], -1
	s_cbranch_scc0 .LBB6_1016
; %bb.1015:                             ;   in Loop: Header=BB6_1013 Depth=3
	s_trap 2
	ds_read_b64 v[1:2], v0
	s_andn2_b64 s[36:37], s[36:37], exec
	s_mov_b32 s49, 0
	s_mov_b64 s[34:35], 0
	s_waitcnt vmcnt(0) lgkmcnt(0)
	flat_load_dword v1, v[1:2] glc
	s_waitcnt vmcnt(0) lgkmcnt(0)
	buffer_wbinvl1_vol
	v_cmp_eq_u32_e64 s[26:27], 0, v1
	s_and_b64 s[26:27], s[26:27], exec
	s_or_b64 s[36:37], s[36:37], s[26:27]
	s_and_saveexec_b64 s[38:39], s[36:37]
	s_cbranch_execz .LBB6_1011
	s_branch .LBB6_1010
.LBB6_1016:                             ;   in Loop: Header=BB6_1013 Depth=3
	s_add_i32 s49, s49, 1
	s_mov_b64 s[34:35], -1
                                        ; implicit-def: $vgpr1
	s_and_saveexec_b64 s[38:39], s[36:37]
	s_cbranch_execz .LBB6_1011
	s_branch .LBB6_1010
.LBB6_1017:                             ;   in Loop: Header=BB6_1005 Depth=2
	s_or_b64 exec, exec, s[78:79]
	s_xor_b64 s[26:27], s[88:89], -1
	s_and_saveexec_b64 s[78:79], s[26:27]
	s_xor_b64 s[26:27], exec, s[78:79]
	s_cbranch_execz .LBB6_1019
; %bb.1018:                             ;   in Loop: Header=BB6_1005 Depth=2
	v_or_b32_e32 v45, 64, v45
	s_waitcnt lgkmcnt(0)
	ds_write_b32 v0, v1
	s_trap 2
.LBB6_1019:                             ;   in Loop: Header=BB6_1005 Depth=2
	s_or_b64 exec, exec, s[26:27]
.LBB6_1020:                             ;   in Loop: Header=BB6_1005 Depth=2
	s_or_b64 exec, exec, s[76:77]
	v_and_b32_e32 v1, 0x100, v45
	v_cmp_ne_u32_e32 vcc, 0, v1
	v_and_b32_e32 v1, 7, v15
	s_mov_b64 s[26:27], -1
	;;#ASMSTART
	s_wakeup
	;;#ASMEND
                                        ; implicit-def: $vgpr8_vgpr9
	s_and_saveexec_b64 s[76:77], vcc
	s_cbranch_execz .LBB6_1024
; %bb.1021:                             ;   in Loop: Header=BB6_1005 Depth=2
	buffer_load_dword v8, off, s[0:3], s33 offset:120 ; 4-byte Folded Reload
	buffer_load_dword v9, off, s[0:3], s33 offset:124 ; 4-byte Folded Reload
	;; [unrolled: 1-line block ×4, first 2 shown]
	s_waitcnt vmcnt(0)
	v_mad_u64_u32 v[10:11], s[26:27], v1, 24, v[8:9]
                                        ; implicit-def: $vgpr8_vgpr9
	flat_load_dword v2, v[10:11]
	s_waitcnt vmcnt(0) lgkmcnt(0)
	v_cmp_ne_u32_e32 vcc, 1, v2
	v_cmp_eq_u32_e64 s[26:27], 1, v2
	s_and_saveexec_b64 s[78:79], s[26:27]
	s_cbranch_execz .LBB6_1023
; %bb.1022:                             ;   in Loop: Header=BB6_1005 Depth=2
	flat_load_dword v8, v[10:11] offset:4 glc
	s_waitcnt vmcnt(0) lgkmcnt(0)
	v_ashrrev_i32_e32 v9, 31, v8
.LBB6_1023:                             ;   in Loop: Header=BB6_1005 Depth=2
	s_or_b64 exec, exec, s[78:79]
	s_orn2_b64 s[26:27], vcc, exec
.LBB6_1024:                             ;   in Loop: Header=BB6_1005 Depth=2
	s_or_b64 exec, exec, s[76:77]
	s_and_saveexec_b64 s[76:77], s[26:27]
	s_cbranch_execz .LBB6_1026
; %bb.1025:                             ;   in Loop: Header=BB6_1005 Depth=2
	buffer_load_dword v2, off, s[0:3], s33 offset:144 ; 4-byte Folded Reload
	s_waitcnt vmcnt(0)
	v_mad_i64_i32 v[8:9], s[26:27], v1, v2, 0
.LBB6_1026:                             ;   in Loop: Header=BB6_1005 Depth=2
	s_or_b64 exec, exec, s[76:77]
	v_add_co_u32_e32 v1, vcc, v48, v8
	v_addc_co_u32_e32 v2, vcc, v49, v9, vcc
	ds_write_b64 v0, v[1:2] offset:720
	v_and_b32_e32 v1, 0x2000, v45
	v_cmp_ne_u32_e32 vcc, 0, v1
	s_and_saveexec_b64 s[26:27], vcc
	s_cbranch_execz .LBB6_1028
; %bb.1027:                             ;   in Loop: Header=BB6_1005 Depth=2
	ds_read_b64 v[1:2], v0 offset:872
	s_waitcnt lgkmcnt(0)
	v_add_co_u32_e32 v1, vcc, 1, v1
	v_addc_co_u32_e32 v2, vcc, 0, v2, vcc
	ds_write_b64 v0, v[1:2] offset:872
.LBB6_1028:                             ;   in Loop: Header=BB6_1005 Depth=2
	s_or_b64 exec, exec, s[26:27]
	v_mov_b32_e32 v16, v4
	v_mov_b32_e32 v15, v3
.LBB6_1029:                             ;   in Loop: Header=BB6_1005 Depth=2
	s_or_b64 exec, exec, s[74:75]
	s_and_saveexec_b64 s[26:27], s[10:11]
	s_cbranch_execz .LBB6_1048
; %bb.1030:                             ;   in Loop: Header=BB6_1005 Depth=2
	s_and_saveexec_b64 s[74:75], s[56:57]
	s_xor_b64 s[74:75], exec, s[74:75]
	s_cbranch_execz .LBB6_1045
; %bb.1031:                             ;   in Loop: Header=BB6_1005 Depth=2
	s_and_saveexec_b64 s[76:77], s[16:17]
	s_cbranch_execz .LBB6_1044
; %bb.1032:                             ;   in Loop: Header=BB6_1005 Depth=2
	s_mov_b64 s[88:89], exec
	v_mbcnt_lo_u32_b32 v1, s88, 0
	v_mbcnt_hi_u32_b32 v1, s89, v1
	v_cmp_eq_u32_e32 vcc, 0, v1
	s_waitcnt vmcnt(0) lgkmcnt(0)
	buffer_wbinvl1_vol
	s_and_saveexec_b64 s[78:79], vcc
	s_cbranch_execz .LBB6_1034
; %bb.1033:                             ;   in Loop: Header=BB6_1005 Depth=2
	s_bcnt1_i32_b64 s88, s[88:89]
	v_mov_b32_e32 v1, s88
	v_mov_b32_e32 v2, v51
	ds_add_u64 v0, v[1:2]
	s_trap 2
.LBB6_1034:                             ;   in Loop: Header=BB6_1005 Depth=2
	s_or_b64 exec, exec, s[78:79]
	s_trap 2
	ds_read_b64 v[1:2], v0
	s_waitcnt lgkmcnt(0)
	v_add_co_u32_e32 v56, vcc, v56, v53
	v_addc_co_u32_e32 v57, vcc, 0, v57, vcc
	v_cmp_lt_u64_e32 vcc, v[1:2], v[56:57]
	s_and_saveexec_b64 s[78:79], vcc
	s_cbranch_execz .LBB6_1043
; %bb.1035:                             ;   in Loop: Header=BB6_1005 Depth=2
	s_mov_b32 s34, 0
	s_mov_b64 s[88:89], 0
                                        ; implicit-def: $sgpr90_sgpr91
                                        ; implicit-def: $sgpr92_sgpr93
	s_branch .LBB6_1037
.LBB6_1036:                             ;   in Loop: Header=BB6_1037 Depth=3
	s_or_b64 exec, exec, s[30:31]
	s_and_b64 s[94:95], exec, vcc
	s_or_b64 s[88:89], s[94:95], s[88:89]
	s_andn2_b64 s[90:91], s[90:91], exec
	s_and_b64 s[94:95], s[92:93], exec
	s_or_b64 s[90:91], s[90:91], s[94:95]
	s_andn2_b64 exec, exec, s[88:89]
	s_cbranch_execz .LBB6_1041
.LBB6_1037:                             ;   Parent Loop BB6_47 Depth=1
                                        ;     Parent Loop BB6_1005 Depth=2
                                        ; =>    This Inner Loop Header: Depth=3
	s_add_i32 s34, s34, 1
	s_cmpk_lg_i32 s34, 0x2710
	s_cselect_b64 s[94:95], -1, 0
	s_and_b64 vcc, exec, s[94:95]
	s_cbranch_vccz .LBB6_1039
; %bb.1038:                             ;   in Loop: Header=BB6_1037 Depth=3
	s_mov_b64 vcc, -1
	s_or_b64 s[92:93], s[92:93], exec
	s_and_saveexec_b64 s[30:31], s[94:95]
	s_cbranch_execz .LBB6_1036
	s_branch .LBB6_1040
.LBB6_1039:                             ;   in Loop: Header=BB6_1037 Depth=3
	s_trap 2
	ds_read_b64 v[1:2], v0
	s_andn2_b64 s[94:95], s[94:95], exec
	s_mov_b32 s34, 0
	s_waitcnt lgkmcnt(0)
	flat_load_dword v1, v[1:2] glc
	s_waitcnt vmcnt(0) lgkmcnt(0)
	buffer_wbinvl1_vol
	v_cmp_eq_u32_e32 vcc, 0, v1
	s_and_b64 vcc, vcc, exec
	s_or_b64 s[94:95], s[94:95], vcc
	s_mov_b64 vcc, -1
	s_or_b64 s[92:93], s[92:93], exec
	s_and_saveexec_b64 s[30:31], s[94:95]
	s_cbranch_execz .LBB6_1036
.LBB6_1040:                             ;   in Loop: Header=BB6_1037 Depth=3
	s_sleep 1
	s_trap 2
	ds_read_b64 v[1:2], v0
	s_waitcnt lgkmcnt(0)
	s_andn2_b64 s[92:93], s[92:93], exec
	v_cmp_ge_u64_e32 vcc, v[1:2], v[56:57]
	s_orn2_b64 vcc, vcc, exec
	s_branch .LBB6_1036
.LBB6_1041:                             ;   in Loop: Header=BB6_1005 Depth=2
	s_or_b64 exec, exec, s[88:89]
	s_and_saveexec_b64 s[88:89], s[90:91]
	s_xor_b64 s[88:89], exec, s[88:89]
	s_cbranch_execz .LBB6_1043
; %bb.1042:                             ;   in Loop: Header=BB6_1005 Depth=2
	ds_write_b32 v0, v54
	s_trap 2
.LBB6_1043:                             ;   in Loop: Header=BB6_1005 Depth=2
	s_or_b64 exec, exec, s[78:79]
	;;#ASMSTART
	s_wakeup
	;;#ASMEND
.LBB6_1044:                             ;   in Loop: Header=BB6_1005 Depth=2
	s_or_b64 exec, exec, s[76:77]
.LBB6_1045:                             ;   in Loop: Header=BB6_1005 Depth=2
	s_andn2_saveexec_b64 s[74:75], s[74:75]
	s_cbranch_execz .LBB6_1047
; %bb.1046:                             ;   in Loop: Header=BB6_1005 Depth=2
	s_waitcnt vmcnt(0) lgkmcnt(0)
	buffer_wbinvl1_vol
	s_barrier
.LBB6_1047:                             ;   in Loop: Header=BB6_1005 Depth=2
	s_or_b64 exec, exec, s[74:75]
.LBB6_1048:                             ;   in Loop: Header=BB6_1005 Depth=2
	s_or_b64 exec, exec, s[26:27]
	s_trap 2
	ds_read_b32 v1, v0
	v_and_b32_e32 v2, 0x4000, v45
	v_cmp_ne_u32_e32 vcc, 0, v2
	s_xor_b64 s[26:27], s[6:7], -1
	s_and_b64 s[74:75], s[26:27], vcc
	s_and_saveexec_b64 s[26:27], s[74:75]
	s_cbranch_execz .LBB6_1067
; %bb.1049:                             ;   in Loop: Header=BB6_1005 Depth=2
	s_and_saveexec_b64 s[74:75], s[56:57]
	s_xor_b64 s[74:75], exec, s[74:75]
	s_cbranch_execz .LBB6_1064
; %bb.1050:                             ;   in Loop: Header=BB6_1005 Depth=2
	s_and_saveexec_b64 s[76:77], s[16:17]
	s_cbranch_execz .LBB6_1063
; %bb.1051:                             ;   in Loop: Header=BB6_1005 Depth=2
	s_mov_b64 s[88:89], exec
	v_mbcnt_lo_u32_b32 v2, s88, 0
	v_mbcnt_hi_u32_b32 v2, s89, v2
	v_cmp_eq_u32_e32 vcc, 0, v2
	s_waitcnt vmcnt(0) lgkmcnt(0)
	buffer_wbinvl1_vol
	s_and_saveexec_b64 s[78:79], vcc
	s_cbranch_execz .LBB6_1053
; %bb.1052:                             ;   in Loop: Header=BB6_1005 Depth=2
	s_bcnt1_i32_b64 s88, s[88:89]
	v_mov_b32_e32 v2, s88
	v_mov_b32_e32 v3, v51
	ds_add_u64 v0, v[2:3]
	s_trap 2
.LBB6_1053:                             ;   in Loop: Header=BB6_1005 Depth=2
	s_or_b64 exec, exec, s[78:79]
	s_trap 2
	ds_read_b64 v[2:3], v0
	s_waitcnt lgkmcnt(0)
	v_add_co_u32_e32 v56, vcc, v56, v53
	v_addc_co_u32_e32 v57, vcc, 0, v57, vcc
	v_cmp_lt_u64_e32 vcc, v[2:3], v[56:57]
	s_and_saveexec_b64 s[78:79], vcc
	s_cbranch_execz .LBB6_1062
; %bb.1054:                             ;   in Loop: Header=BB6_1005 Depth=2
	s_mov_b32 s34, 0
	s_mov_b64 s[88:89], 0
                                        ; implicit-def: $sgpr90_sgpr91
                                        ; implicit-def: $sgpr92_sgpr93
	s_branch .LBB6_1056
.LBB6_1055:                             ;   in Loop: Header=BB6_1056 Depth=3
	s_or_b64 exec, exec, s[30:31]
	s_and_b64 s[94:95], exec, vcc
	s_or_b64 s[88:89], s[94:95], s[88:89]
	s_andn2_b64 s[90:91], s[90:91], exec
	s_and_b64 s[94:95], s[92:93], exec
	s_or_b64 s[90:91], s[90:91], s[94:95]
	s_andn2_b64 exec, exec, s[88:89]
	s_cbranch_execz .LBB6_1060
.LBB6_1056:                             ;   Parent Loop BB6_47 Depth=1
                                        ;     Parent Loop BB6_1005 Depth=2
                                        ; =>    This Inner Loop Header: Depth=3
	s_add_i32 s34, s34, 1
	s_cmpk_lg_i32 s34, 0x2710
	s_cselect_b64 s[94:95], -1, 0
	s_and_b64 vcc, exec, s[94:95]
	s_cbranch_vccz .LBB6_1058
; %bb.1057:                             ;   in Loop: Header=BB6_1056 Depth=3
	s_mov_b64 vcc, -1
	s_or_b64 s[92:93], s[92:93], exec
	s_and_saveexec_b64 s[30:31], s[94:95]
	s_cbranch_execz .LBB6_1055
	s_branch .LBB6_1059
.LBB6_1058:                             ;   in Loop: Header=BB6_1056 Depth=3
	s_trap 2
	ds_read_b64 v[2:3], v0
	s_andn2_b64 s[94:95], s[94:95], exec
	s_mov_b32 s34, 0
	s_waitcnt lgkmcnt(0)
	flat_load_dword v2, v[2:3] glc
	s_waitcnt vmcnt(0) lgkmcnt(0)
	buffer_wbinvl1_vol
	v_cmp_eq_u32_e32 vcc, 0, v2
	s_and_b64 vcc, vcc, exec
	s_or_b64 s[94:95], s[94:95], vcc
	s_mov_b64 vcc, -1
	s_or_b64 s[92:93], s[92:93], exec
	s_and_saveexec_b64 s[30:31], s[94:95]
	s_cbranch_execz .LBB6_1055
.LBB6_1059:                             ;   in Loop: Header=BB6_1056 Depth=3
	s_sleep 1
	s_trap 2
	ds_read_b64 v[2:3], v0
	s_waitcnt lgkmcnt(0)
	s_andn2_b64 s[92:93], s[92:93], exec
	v_cmp_ge_u64_e32 vcc, v[2:3], v[56:57]
	s_orn2_b64 vcc, vcc, exec
	s_branch .LBB6_1055
.LBB6_1060:                             ;   in Loop: Header=BB6_1005 Depth=2
	s_or_b64 exec, exec, s[88:89]
	s_and_saveexec_b64 s[88:89], s[90:91]
	s_xor_b64 s[88:89], exec, s[88:89]
	s_cbranch_execz .LBB6_1062
; %bb.1061:                             ;   in Loop: Header=BB6_1005 Depth=2
	ds_write_b32 v0, v54
	s_trap 2
.LBB6_1062:                             ;   in Loop: Header=BB6_1005 Depth=2
	s_or_b64 exec, exec, s[78:79]
	;;#ASMSTART
	s_wakeup
	;;#ASMEND
.LBB6_1063:                             ;   in Loop: Header=BB6_1005 Depth=2
	s_or_b64 exec, exec, s[76:77]
.LBB6_1064:                             ;   in Loop: Header=BB6_1005 Depth=2
	s_andn2_saveexec_b64 s[74:75], s[74:75]
	s_cbranch_execz .LBB6_1066
; %bb.1065:                             ;   in Loop: Header=BB6_1005 Depth=2
	s_waitcnt vmcnt(0) lgkmcnt(0)
	buffer_wbinvl1_vol
	s_barrier
.LBB6_1066:                             ;   in Loop: Header=BB6_1005 Depth=2
	s_or_b64 exec, exec, s[74:75]
.LBB6_1067:                             ;   in Loop: Header=BB6_1005 Depth=2
	s_or_b64 exec, exec, s[26:27]
	s_trap 2
	ds_read_b64 v[3:4], v0
	v_sub_u32_e32 v2, v0, v7
	v_min_i32_e32 v5, v5, v2
	s_waitcnt lgkmcnt(0)
	v_cmp_eq_u64_e32 vcc, 0, v[3:4]
	s_cbranch_vccnz .LBB6_1075
; %bb.1068:                             ;   in Loop: Header=BB6_1005 Depth=2
	s_trap 2
	ds_read_b64 v[8:9], v0
	s_waitcnt lgkmcnt(0)
	v_cmp_eq_u64_e32 vcc, 0, v[8:9]
	s_cbranch_vccnz .LBB6_1075
; %bb.1069:                             ;   in Loop: Header=BB6_1005 Depth=2
	s_mov_b64 s[26:27], -1
	s_and_saveexec_b64 s[74:75], s[20:21]
	s_cbranch_execz .LBB6_1071
; %bb.1070:                             ;   in Loop: Header=BB6_1005 Depth=2
	ds_read_b32 v2, v0 offset:720
	s_waitcnt lgkmcnt(0)
	v_and_b32_e32 v2, 15, v2
	v_cmp_eq_u32_e32 vcc, 0, v2
	s_orn2_b64 s[26:27], vcc, exec
.LBB6_1071:                             ;   in Loop: Header=BB6_1005 Depth=2
	s_or_b64 exec, exec, s[74:75]
	s_and_saveexec_b64 s[74:75], s[18:19]
	s_cbranch_execz .LBB6_1073
; %bb.1072:                             ;   in Loop: Header=BB6_1005 Depth=2
	ds_read_b32 v2, v0 offset:784
	s_waitcnt lgkmcnt(0)
	v_and_b32_e32 v2, 15, v2
	v_cmp_eq_u32_e32 vcc, 0, v2
	s_and_b64 s[76:77], s[26:27], vcc
	s_andn2_b64 s[26:27], s[26:27], exec
	s_and_b64 s[76:77], s[76:77], exec
	s_or_b64 s[26:27], s[26:27], s[76:77]
.LBB6_1073:                             ;   in Loop: Header=BB6_1005 Depth=2
	s_or_b64 exec, exec, s[74:75]
	buffer_load_dword v11, off, s[0:3], s33 offset:148 ; 4-byte Folded Reload
	v_cmp_eq_u32_e32 vcc, 0, v1
	s_xor_b64 s[26:27], s[26:27], -1
	v_cndmask_b32_e32 v1, 0, v5, vcc
	v_cndmask_b32_e64 v2, 0, 1, s[26:27]
	s_mov_b64 s[76:77], -1
	v_cmp_ne_u32_e32 vcc, 0, v2
	v_mov_b32_e32 v2, 0
	v_mov_b32_e32 v10, v1
	s_cbranch_vccz .LBB6_1080
; %bb.1074:                             ;   in Loop: Header=BB6_1005 Depth=2
	s_and_saveexec_b64 s[26:27], s[76:77]
	s_cbranch_execnz .LBB6_1091
	s_branch .LBB6_1099
.LBB6_1075:                             ;   in Loop: Header=BB6_1005 Depth=2
	s_mov_b64 s[26:27], 0
	s_and_saveexec_b64 s[74:75], s[10:11]
	s_cbranch_execnz .LBB6_1100
.LBB6_1076:                             ;   in Loop: Header=BB6_1005 Depth=2
	s_or_b64 exec, exec, s[74:75]
	s_and_saveexec_b64 s[74:75], s[24:25]
	s_xor_b64 s[74:75], exec, s[74:75]
	s_cbranch_execz .LBB6_1118
.LBB6_1077:                             ;   in Loop: Header=BB6_1005 Depth=2
	v_and_b32_e32 v1, 16, v45
	v_cmp_ne_u32_e32 vcc, 0, v1
	s_and_b64 s[76:77], vcc, s[26:27]
	s_and_saveexec_b64 s[26:27], s[76:77]
	s_cbranch_execz .LBB6_1079
; %bb.1078:                             ;   in Loop: Header=BB6_1005 Depth=2
	s_waitcnt vmcnt(0) lgkmcnt(0)
	buffer_wbinvl1_vol
.LBB6_1079:                             ;   in Loop: Header=BB6_1005 Depth=2
	s_or_b64 exec, exec, s[26:27]
	s_andn2_saveexec_b64 s[26:27], s[74:75]
	s_cbranch_execz .LBB6_1137
	s_branch .LBB6_1119
.LBB6_1080:                             ;   in Loop: Header=BB6_1005 Depth=2
	buffer_load_dword v10, off, s[0:3], s33 offset:228 ; 4-byte Folded Reload
	v_ashrrev_i32_e32 v2, 31, v1
	v_lshrrev_b32_e32 v2, 19, v2
	v_add_u32_e32 v2, v1, v2
	v_mov_b32_e32 v59, v16
	v_ashrrev_i32_e32 v2, 13, v2
	v_mov_b32_e32 v58, v15
	s_waitcnt vmcnt(0)
	v_sub_u32_e32 v15, v2, v10
	v_cmp_lt_i32_e32 vcc, 0, v15
	s_and_saveexec_b64 s[74:75], vcc
	s_cbranch_execz .LBB6_1084
; %bb.1081:                             ;   in Loop: Header=BB6_1005 Depth=2
	v_mov_b32_e32 v47, v38
	v_mov_b32_e32 v11, v9
	;; [unrolled: 1-line block ×5, first 2 shown]
	s_mov_b64 s[76:77], 0
	v_mov_b32_e32 v10, v8
	v_mov_b32_e32 v12, v3
	v_mov_b32_e32 v60, v53
	v_mov_b32_e32 v61, v55
.LBB6_1082:                             ;   Parent Loop BB6_47 Depth=1
                                        ;     Parent Loop BB6_1005 Depth=2
                                        ; =>    This Inner Loop Header: Depth=3
	s_waitcnt vmcnt(2)
	v_add_co_u32_e32 v32, vcc, v36, v12
	v_addc_co_u32_e32 v33, vcc, 0, v13, vcc
	v_add_co_u32_e32 v52, vcc, s53, v32
	v_addc_co_u32_e32 v53, vcc, 0, v33, vcc
	global_load_dwordx4 v[16:19], v[32:33], off glc slc
	global_load_dwordx4 v[20:23], v[32:33], off offset:1024 glc slc
	global_load_dwordx4 v[24:27], v[32:33], off offset:2048 glc slc
	;; [unrolled: 1-line block ×3, first 2 shown]
	s_nop 0
	global_load_dwordx4 v[32:35], v[52:53], off glc slc
	global_load_dwordx4 v[36:39], v[52:53], off offset:1024 glc slc
	global_load_dwordx4 v[48:51], v[52:53], off offset:2048 glc slc
	s_nop 0
	global_load_dwordx4 v[52:55], v[52:53], off offset:3072 glc slc
	v_sub_u32_e32 v15, v15, v60
	buffer_load_dword v40, off, s[0:3], s33 offset:116 ; 4-byte Folded Reload
	v_cmp_gt_i32_e64 s[26:27], 1, v15
	s_or_b64 s[76:77], s[26:27], s[76:77]
	s_waitcnt vmcnt(0)
	v_add_co_u32_e32 v40, vcc, v40, v10
	v_addc_co_u32_e32 v41, vcc, 0, v11, vcc
	v_add_co_u32_e32 v12, vcc, v12, v61
	v_addc_co_u32_e32 v13, vcc, 0, v13, vcc
	;; [unrolled: 2-line block ×4, first 2 shown]
	global_store_dwordx4 v[40:41], v[16:19], off glc slc
	global_store_dwordx4 v[40:41], v[20:23], off offset:1024 glc slc
	global_store_dwordx4 v[40:41], v[24:27], off offset:2048 glc slc
	;; [unrolled: 1-line block ×3, first 2 shown]
	global_store_dwordx4 v[42:43], v[32:35], off glc slc
	global_store_dwordx4 v[42:43], v[36:39], off offset:1024 glc slc
	buffer_load_dword v36, off, s[0:3], s33 offset:116 ; 4-byte Folded Reload
	s_nop 0
	global_store_dwordx4 v[42:43], v[48:51], off offset:2048 glc slc
	global_store_dwordx4 v[42:43], v[52:55], off offset:3072 glc slc
	s_andn2_b64 exec, exec, s[76:77]
	s_cbranch_execnz .LBB6_1082
; %bb.1083:                             ;   in Loop: Header=BB6_1005 Depth=2
	s_or_b64 exec, exec, s[76:77]
	buffer_load_dword v42, off, s[0:3], s33 offset:288 ; 4-byte Folded Reload
	buffer_load_dword v43, off, s[0:3], s33 offset:292 ; 4-byte Folded Reload
	;; [unrolled: 1-line block ×18, first 2 shown]
	v_mov_b32_e32 v37, v46
	v_mov_b32_e32 v38, v47
	;; [unrolled: 1-line block ×8, first 2 shown]
.LBB6_1084:                             ;   in Loop: Header=BB6_1005 Depth=2
	s_or_b64 exec, exec, s[74:75]
	v_lshlrev_b32_e32 v12, 13, v2
	v_cmp_ne_u32_e32 vcc, v1, v12
	s_mov_b64 s[76:77], 0
	v_mov_b32_e32 v2, 0
                                        ; implicit-def: $vgpr10
                                        ; implicit-def: $vgpr11
	s_and_saveexec_b64 s[74:75], vcc
	s_cbranch_execz .LBB6_1090
; %bb.1085:                             ;   in Loop: Header=BB6_1005 Depth=2
	buffer_load_dword v11, off, s[0:3], s33 offset:340 ; 4-byte Folded Reload
	v_lshlrev_b32_e32 v2, 6, v15
	v_sub_u32_e32 v10, v1, v12
	s_waitcnt vmcnt(0)
	v_sub_u32_e32 v2, v11, v2
	v_ashrrev_i32_e32 v11, 31, v2
	v_lshrrev_b32_e32 v11, 26, v11
	v_add_u32_e32 v11, v2, v11
	v_ashrrev_i32_e32 v13, 6, v11
	v_and_b32_e32 v11, 0xffffffc0, v11
	v_sub_u32_e32 v11, v2, v11
	v_lshlrev_b32_e32 v2, 4, v11
	v_lshl_add_u32 v16, v13, 10, v2
	v_ashrrev_i32_e32 v2, 31, v10
	v_lshrrev_b32_e32 v2, 22, v2
	v_add_u32_e32 v2, v10, v2
	v_ashrrev_i32_e32 v17, 10, v2
	v_and_b32_e32 v2, 0xfffffc00, v2
	v_sub_u32_e32 v15, v10, v16
	v_sub_u32_e32 v10, v10, v2
	v_cmp_lt_i32_e32 vcc, 15, v10
	v_addc_co_u32_e64 v17, s[26:27], 0, v17, vcc
	v_sub_u32_e32 v13, v17, v13
	v_cmp_lt_i32_e64 s[26:27], 15, v15
	s_and_saveexec_b64 s[76:77], s[26:27]
	s_cbranch_execz .LBB6_1089
; %bb.1086:                             ;   in Loop: Header=BB6_1005 Depth=2
	v_add_u32_e32 v16, v16, v12
	v_ashrrev_i32_e32 v17, 31, v16
	s_mov_b64 s[78:79], 0
.LBB6_1087:                             ;   Parent Loop BB6_47 Depth=1
                                        ;     Parent Loop BB6_1005 Depth=2
                                        ; =>    This Inner Loop Header: Depth=3
	v_add_co_u32_e64 v18, s[26:27], v3, v16
	v_addc_co_u32_e64 v19, s[26:27], v4, v17, s[26:27]
	global_load_dwordx4 v[18:21], v[18:19], off glc slc
	v_add_co_u32_e64 v22, s[26:27], v8, v16
	v_addc_co_u32_e64 v23, s[26:27], v9, v17, s[26:27]
	v_add_co_u32_e64 v16, s[26:27], v16, v32
	v_sub_u32_e32 v15, v15, v32
	v_addc_co_u32_e64 v17, s[26:27], 0, v17, s[26:27]
	v_cmp_gt_i32_e64 s[26:27], 16, v15
	v_sub_u32_e32 v13, v13, v53
	s_or_b64 s[78:79], s[26:27], s[78:79]
	s_waitcnt vmcnt(0)
	global_store_dwordx4 v[22:23], v[18:21], off glc slc
	s_andn2_b64 exec, exec, s[78:79]
	s_cbranch_execnz .LBB6_1087
; %bb.1088:                             ;   in Loop: Header=BB6_1005 Depth=2
	s_or_b64 exec, exec, s[78:79]
	buffer_load_dword v20, off, s[0:3], s33 offset:252 ; 4-byte Folded Reload
	buffer_load_dword v21, off, s[0:3], s33 offset:256 ; 4-byte Folded Reload
	;; [unrolled: 1-line block ×4, first 2 shown]
.LBB6_1089:                             ;   in Loop: Header=BB6_1005 Depth=2
	s_or_b64 exec, exec, s[76:77]
	v_and_b32_e32 v15, 15, v1
	v_sub_u32_e32 v16, v10, v15
	v_cndmask_b32_e32 v16, 0, v16, vcc
	v_cndmask_b32_e32 v10, v10, v15, vcc
	v_cmp_lt_i32_e32 vcc, 0, v13
	v_add3_u32 v2, v2, v12, v16
	v_cndmask_b32_e32 v12, 0, v53, vcc
	v_sub_u32_e32 v12, v12, v13
	v_cmp_ne_u32_e32 vcc, 0, v10
	v_lshl_add_u32 v11, v12, 6, v11
	s_and_b64 s[76:77], vcc, exec
.LBB6_1090:                             ;   in Loop: Header=BB6_1005 Depth=2
	s_or_b64 exec, exec, s[74:75]
	v_mov_b32_e32 v15, v58
	v_mov_b32_e32 v16, v59
	s_and_saveexec_b64 s[26:27], s[76:77]
	s_cbranch_execz .LBB6_1099
.LBB6_1091:                             ;   in Loop: Header=BB6_1005 Depth=2
	s_waitcnt vmcnt(0)
	v_ashrrev_i32_e32 v12, 31, v11
	v_ashrrev_i32_e32 v13, 31, v10
	v_mov_b32_e32 v59, v16
	v_lshrrev_b32_e32 v12, 26, v12
	v_lshrrev_b32_e32 v13, 21, v13
	v_mov_b32_e32 v58, v15
	v_add_u32_e32 v16, v11, v12
	v_add_u32_e32 v13, v10, v13
	v_ashrrev_i32_e32 v12, 6, v16
	v_ashrrev_i32_e32 v15, 11, v13
	v_sub_u32_e32 v13, v15, v12
	v_cmp_lt_i32_e32 vcc, 0, v13
	s_and_saveexec_b64 s[74:75], vcc
	s_cbranch_execz .LBB6_1095
; %bb.1092:                             ;   in Loop: Header=BB6_1005 Depth=2
	v_and_b32_e32 v16, 0xffffffc0, v16
	v_sub_u32_e32 v16, v11, v16
	v_lshlrev_b32_e32 v17, 11, v12
	v_mov_b32_e32 v47, v38
	v_add3_u32 v16, v2, v16, v17
	v_mov_b32_e32 v44, v51
	v_mov_b32_e32 v46, v37
	v_ashrrev_i32_e32 v17, 31, v16
	s_mov_b64 s[76:77], 0
	v_mov_b32_e32 v60, v53
	v_mov_b32_e32 v61, v33
.LBB6_1093:                             ;   Parent Loop BB6_47 Depth=1
                                        ;     Parent Loop BB6_1005 Depth=2
                                        ; =>    This Inner Loop Header: Depth=3
	v_add_co_u32_e32 v18, vcc, v16, v3
	v_addc_co_u32_e32 v19, vcc, v17, v4, vcc
	flat_load_ubyte v20, v[18:19] glc slc
	flat_load_ubyte v21, v[18:19] offset:64 glc slc
	flat_load_ubyte v22, v[18:19] offset:128 glc slc
	;; [unrolled: 1-line block ×31, first 2 shown]
	v_add_co_u32_e32 v18, vcc, v16, v8
	v_addc_co_u32_e32 v19, vcc, v17, v9, vcc
	v_add_co_u32_e32 v3, vcc, v3, v61
	v_addc_co_u32_e32 v4, vcc, 0, v4, vcc
	v_add_co_u32_e32 v8, vcc, v8, v61
	v_sub_u32_e32 v13, v13, v60
	v_addc_co_u32_e32 v9, vcc, 0, v9, vcc
	v_cmp_gt_i32_e32 vcc, 1, v13
	s_or_b64 s[76:77], vcc, s[76:77]
	s_waitcnt vmcnt(0) lgkmcnt(0)
	flat_store_byte v[18:19], v20 glc slc
	flat_store_byte v[18:19], v21 offset:64 glc slc
	flat_store_byte v[18:19], v22 offset:128 glc slc
	;; [unrolled: 1-line block ×31, first 2 shown]
	s_andn2_b64 exec, exec, s[76:77]
	s_cbranch_execnz .LBB6_1093
; %bb.1094:                             ;   in Loop: Header=BB6_1005 Depth=2
	s_or_b64 exec, exec, s[76:77]
	buffer_load_dword v42, off, s[0:3], s33 offset:288 ; 4-byte Folded Reload
	buffer_load_dword v43, off, s[0:3], s33 offset:292 ; 4-byte Folded Reload
	;; [unrolled: 1-line block ×19, first 2 shown]
	v_mov_b32_e32 v37, v46
	v_mov_b32_e32 v38, v47
	;; [unrolled: 1-line block ×8, first 2 shown]
.LBB6_1095:                             ;   in Loop: Header=BB6_1005 Depth=2
	s_or_b64 exec, exec, s[74:75]
	v_lshlrev_b32_e32 v3, 11, v15
	v_cmp_ne_u32_e32 vcc, v10, v3
	v_mov_b32_e32 v15, v58
	s_and_b64 s[74:75], exec, vcc
	v_mov_b32_e32 v16, v59
	s_mov_b64 exec, s[74:75]
	s_cbranch_execz .LBB6_1099
; %bb.1096:                             ;   in Loop: Header=BB6_1005 Depth=2
	v_lshlrev_b32_e32 v4, 6, v12
	v_sub_u32_e32 v4, v11, v4
	v_lshlrev_b32_e32 v8, 6, v13
	v_sub_u32_e32 v4, v4, v8
	v_add_u32_e32 v3, v3, v4
	v_sub_u32_e32 v8, v10, v3
	v_cmp_lt_i32_e32 vcc, 0, v8
	s_and_b64 exec, exec, vcc
	s_cbranch_execz .LBB6_1099
; %bb.1097:                             ;   in Loop: Header=BB6_1005 Depth=2
	v_add_u32_e32 v2, v3, v2
	s_trap 2
	ds_read_b64 v[3:4], v0
	v_ashrrev_i32_e32 v9, 31, v2
	s_mov_b64 s[74:75], 0
.LBB6_1098:                             ;   Parent Loop BB6_47 Depth=1
                                        ;     Parent Loop BB6_1005 Depth=2
                                        ; =>    This Inner Loop Header: Depth=3
	s_waitcnt lgkmcnt(0)
	v_add_co_u32_e32 v10, vcc, v3, v2
	v_addc_co_u32_e32 v11, vcc, v4, v9, vcc
	flat_load_ubyte v12, v[10:11] glc slc
	s_waitcnt vmcnt(0)
	v_add_co_u32_e32 v2, vcc, v2, v50
	v_sub_u32_e32 v8, v8, v50
	v_addc_co_u32_e32 v9, vcc, 0, v9, vcc
	v_cmp_gt_i32_e32 vcc, 1, v8
	s_or_b64 s[74:75], vcc, s[74:75]
	s_waitcnt lgkmcnt(0)
	flat_store_byte v[10:11], v12 glc slc
	s_andn2_b64 exec, exec, s[74:75]
	s_cbranch_execnz .LBB6_1098
.LBB6_1099:                             ;   in Loop: Header=BB6_1005 Depth=2
	s_or_b64 exec, exec, s[26:27]
	v_cmp_lt_i32_e64 s[26:27], 0, v1
	s_and_saveexec_b64 s[74:75], s[10:11]
	s_cbranch_execz .LBB6_1076
.LBB6_1100:                             ;   in Loop: Header=BB6_1005 Depth=2
	s_and_saveexec_b64 s[76:77], s[56:57]
	s_xor_b64 s[76:77], exec, s[76:77]
	s_cbranch_execz .LBB6_1115
; %bb.1101:                             ;   in Loop: Header=BB6_1005 Depth=2
	s_and_saveexec_b64 s[78:79], s[16:17]
	s_cbranch_execz .LBB6_1114
; %bb.1102:                             ;   in Loop: Header=BB6_1005 Depth=2
	s_mov_b64 s[90:91], exec
	v_mbcnt_lo_u32_b32 v1, s90, 0
	v_mbcnt_hi_u32_b32 v1, s91, v1
	v_cmp_eq_u32_e32 vcc, 0, v1
	s_waitcnt vmcnt(0) lgkmcnt(0)
	buffer_wbinvl1_vol
	s_and_saveexec_b64 s[88:89], vcc
	s_cbranch_execz .LBB6_1104
; %bb.1103:                             ;   in Loop: Header=BB6_1005 Depth=2
	s_bcnt1_i32_b64 s90, s[90:91]
	v_mov_b32_e32 v1, s90
	v_mov_b32_e32 v2, v51
	ds_add_u64 v0, v[1:2]
	s_trap 2
.LBB6_1104:                             ;   in Loop: Header=BB6_1005 Depth=2
	s_or_b64 exec, exec, s[88:89]
	s_trap 2
	ds_read_b64 v[1:2], v0
	s_waitcnt lgkmcnt(0)
	v_add_co_u32_e32 v56, vcc, v56, v53
	v_addc_co_u32_e32 v57, vcc, 0, v57, vcc
	v_cmp_lt_u64_e32 vcc, v[1:2], v[56:57]
	s_and_saveexec_b64 s[88:89], vcc
	s_cbranch_execz .LBB6_1113
; %bb.1105:                             ;   in Loop: Header=BB6_1005 Depth=2
	s_mov_b32 s36, 0
	s_mov_b64 s[90:91], 0
                                        ; implicit-def: $sgpr92_sgpr93
                                        ; implicit-def: $sgpr94_sgpr95
	s_branch .LBB6_1107
.LBB6_1106:                             ;   in Loop: Header=BB6_1107 Depth=3
	s_or_b64 exec, exec, s[34:35]
	s_and_b64 vcc, exec, vcc
	s_or_b64 s[90:91], vcc, s[90:91]
	s_andn2_b64 s[92:93], s[92:93], exec
	s_and_b64 vcc, s[94:95], exec
	s_or_b64 s[92:93], s[92:93], vcc
	s_andn2_b64 exec, exec, s[90:91]
	s_cbranch_execz .LBB6_1111
.LBB6_1107:                             ;   Parent Loop BB6_47 Depth=1
                                        ;     Parent Loop BB6_1005 Depth=2
                                        ; =>    This Inner Loop Header: Depth=3
	s_add_i32 s36, s36, 1
	s_cmpk_lg_i32 s36, 0x2710
	s_cselect_b64 s[30:31], -1, 0
	s_and_b64 vcc, exec, s[30:31]
	s_cbranch_vccz .LBB6_1109
; %bb.1108:                             ;   in Loop: Header=BB6_1107 Depth=3
	s_mov_b64 vcc, -1
	s_or_b64 s[94:95], s[94:95], exec
	s_and_saveexec_b64 s[34:35], s[30:31]
	s_cbranch_execz .LBB6_1106
	s_branch .LBB6_1110
.LBB6_1109:                             ;   in Loop: Header=BB6_1107 Depth=3
	s_trap 2
	ds_read_b64 v[1:2], v0
	s_andn2_b64 s[30:31], s[30:31], exec
	s_mov_b32 s36, 0
	s_waitcnt lgkmcnt(0)
	flat_load_dword v1, v[1:2] glc
	s_waitcnt vmcnt(0) lgkmcnt(0)
	buffer_wbinvl1_vol
	v_cmp_eq_u32_e32 vcc, 0, v1
	s_and_b64 vcc, vcc, exec
	s_or_b64 s[30:31], s[30:31], vcc
	s_mov_b64 vcc, -1
	s_or_b64 s[94:95], s[94:95], exec
	s_and_saveexec_b64 s[34:35], s[30:31]
	s_cbranch_execz .LBB6_1106
.LBB6_1110:                             ;   in Loop: Header=BB6_1107 Depth=3
	s_sleep 1
	s_trap 2
	ds_read_b64 v[1:2], v0
	s_waitcnt lgkmcnt(0)
	s_andn2_b64 s[94:95], s[94:95], exec
	v_cmp_ge_u64_e32 vcc, v[1:2], v[56:57]
	s_orn2_b64 vcc, vcc, exec
	s_branch .LBB6_1106
.LBB6_1111:                             ;   in Loop: Header=BB6_1005 Depth=2
	s_or_b64 exec, exec, s[90:91]
	s_and_saveexec_b64 s[90:91], s[92:93]
	s_xor_b64 s[90:91], exec, s[90:91]
	s_cbranch_execz .LBB6_1113
; %bb.1112:                             ;   in Loop: Header=BB6_1005 Depth=2
	ds_write_b32 v0, v54
	s_trap 2
.LBB6_1113:                             ;   in Loop: Header=BB6_1005 Depth=2
	s_or_b64 exec, exec, s[88:89]
	;;#ASMSTART
	s_wakeup
	;;#ASMEND
.LBB6_1114:                             ;   in Loop: Header=BB6_1005 Depth=2
	s_or_b64 exec, exec, s[78:79]
.LBB6_1115:                             ;   in Loop: Header=BB6_1005 Depth=2
	s_andn2_saveexec_b64 s[76:77], s[76:77]
	s_cbranch_execz .LBB6_1117
; %bb.1116:                             ;   in Loop: Header=BB6_1005 Depth=2
	s_waitcnt vmcnt(0) lgkmcnt(0)
	buffer_wbinvl1_vol
	s_barrier
.LBB6_1117:                             ;   in Loop: Header=BB6_1005 Depth=2
	s_or_b64 exec, exec, s[76:77]
	s_or_b64 exec, exec, s[74:75]
	s_and_saveexec_b64 s[74:75], s[24:25]
	s_xor_b64 s[74:75], exec, s[74:75]
	s_cbranch_execnz .LBB6_1077
.LBB6_1118:                             ;   in Loop: Header=BB6_1005 Depth=2
	s_andn2_saveexec_b64 s[26:27], s[74:75]
	s_cbranch_execz .LBB6_1137
.LBB6_1119:                             ;   in Loop: Header=BB6_1005 Depth=2
	s_and_saveexec_b64 s[74:75], s[56:57]
	s_xor_b64 s[74:75], exec, s[74:75]
	s_cbranch_execz .LBB6_1134
; %bb.1120:                             ;   in Loop: Header=BB6_1005 Depth=2
	s_and_saveexec_b64 s[76:77], s[16:17]
	s_cbranch_execz .LBB6_1133
; %bb.1121:                             ;   in Loop: Header=BB6_1005 Depth=2
	s_mov_b64 s[88:89], exec
	v_mbcnt_lo_u32_b32 v1, s88, 0
	v_mbcnt_hi_u32_b32 v1, s89, v1
	v_cmp_eq_u32_e32 vcc, 0, v1
	;;#ASMSTART
	s_waitcnt lgkmcnt(0) vmcnt(0)
	;;#ASMEND
	s_and_saveexec_b64 s[78:79], vcc
	s_cbranch_execz .LBB6_1123
; %bb.1122:                             ;   in Loop: Header=BB6_1005 Depth=2
	s_bcnt1_i32_b64 s88, s[88:89]
	v_mov_b32_e32 v1, s88
	v_mov_b32_e32 v2, v51
	s_waitcnt lgkmcnt(0)
	ds_add_u64 v0, v[1:2]
	s_trap 2
.LBB6_1123:                             ;   in Loop: Header=BB6_1005 Depth=2
	s_or_b64 exec, exec, s[78:79]
	s_trap 2
	ds_read_b64 v[1:2], v0
	s_waitcnt lgkmcnt(0)
	v_add_co_u32_e32 v56, vcc, v56, v53
	v_addc_co_u32_e32 v57, vcc, 0, v57, vcc
	v_cmp_lt_u64_e32 vcc, v[1:2], v[56:57]
	s_and_saveexec_b64 s[78:79], vcc
	s_cbranch_execz .LBB6_1132
; %bb.1124:                             ;   in Loop: Header=BB6_1005 Depth=2
	s_mov_b32 s34, 0
	s_mov_b64 s[88:89], 0
                                        ; implicit-def: $sgpr90_sgpr91
                                        ; implicit-def: $sgpr92_sgpr93
	s_branch .LBB6_1126
.LBB6_1125:                             ;   in Loop: Header=BB6_1126 Depth=3
	s_or_b64 exec, exec, s[30:31]
	s_and_b64 s[94:95], exec, vcc
	s_or_b64 s[88:89], s[94:95], s[88:89]
	s_andn2_b64 s[90:91], s[90:91], exec
	s_and_b64 s[94:95], s[92:93], exec
	s_or_b64 s[90:91], s[90:91], s[94:95]
	s_andn2_b64 exec, exec, s[88:89]
	s_cbranch_execz .LBB6_1130
.LBB6_1126:                             ;   Parent Loop BB6_47 Depth=1
                                        ;     Parent Loop BB6_1005 Depth=2
                                        ; =>    This Inner Loop Header: Depth=3
	s_add_i32 s34, s34, 1
	s_cmpk_lg_i32 s34, 0x2710
	s_cselect_b64 s[94:95], -1, 0
	s_and_b64 vcc, exec, s[94:95]
	s_cbranch_vccz .LBB6_1128
; %bb.1127:                             ;   in Loop: Header=BB6_1126 Depth=3
	s_mov_b64 vcc, -1
	s_or_b64 s[92:93], s[92:93], exec
	s_and_saveexec_b64 s[30:31], s[94:95]
	s_cbranch_execz .LBB6_1125
	s_branch .LBB6_1129
.LBB6_1128:                             ;   in Loop: Header=BB6_1126 Depth=3
	s_trap 2
	ds_read_b64 v[1:2], v0
	s_andn2_b64 s[94:95], s[94:95], exec
	s_mov_b32 s34, 0
	s_waitcnt vmcnt(0) lgkmcnt(0)
	flat_load_dword v1, v[1:2] glc
	s_waitcnt vmcnt(0) lgkmcnt(0)
	buffer_wbinvl1_vol
	v_cmp_eq_u32_e32 vcc, 0, v1
	s_and_b64 vcc, vcc, exec
	s_or_b64 s[94:95], s[94:95], vcc
	s_mov_b64 vcc, -1
	s_or_b64 s[92:93], s[92:93], exec
	s_and_saveexec_b64 s[30:31], s[94:95]
	s_cbranch_execz .LBB6_1125
.LBB6_1129:                             ;   in Loop: Header=BB6_1126 Depth=3
	s_sleep 1
	s_trap 2
	ds_read_b64 v[1:2], v0
	s_waitcnt lgkmcnt(0)
	s_andn2_b64 s[92:93], s[92:93], exec
	v_cmp_ge_u64_e32 vcc, v[1:2], v[56:57]
	s_orn2_b64 vcc, vcc, exec
	s_branch .LBB6_1125
.LBB6_1130:                             ;   in Loop: Header=BB6_1005 Depth=2
	s_or_b64 exec, exec, s[88:89]
	s_and_saveexec_b64 s[88:89], s[90:91]
	s_xor_b64 s[88:89], exec, s[88:89]
	s_cbranch_execz .LBB6_1132
; %bb.1131:                             ;   in Loop: Header=BB6_1005 Depth=2
	ds_write_b32 v0, v54
	s_trap 2
.LBB6_1132:                             ;   in Loop: Header=BB6_1005 Depth=2
	s_or_b64 exec, exec, s[78:79]
	;;#ASMSTART
	s_wakeup
	;;#ASMEND
.LBB6_1133:                             ;   in Loop: Header=BB6_1005 Depth=2
	s_or_b64 exec, exec, s[76:77]
.LBB6_1134:                             ;   in Loop: Header=BB6_1005 Depth=2
	s_andn2_saveexec_b64 s[74:75], s[74:75]
	s_cbranch_execz .LBB6_1136
; %bb.1135:                             ;   in Loop: Header=BB6_1005 Depth=2
	;;#ASMSTART
	s_waitcnt lgkmcnt(0) vmcnt(0)
	;;#ASMEND
	s_waitcnt vmcnt(0) lgkmcnt(0)
	s_barrier
.LBB6_1136:                             ;   in Loop: Header=BB6_1005 Depth=2
	s_or_b64 exec, exec, s[74:75]
.LBB6_1137:                             ;   in Loop: Header=BB6_1005 Depth=2
	s_or_b64 exec, exec, s[26:27]
	v_and_b32_e32 v1, 32, v45
	v_cmp_ne_u32_e32 vcc, 0, v1
	s_and_saveexec_b64 s[26:27], vcc
	s_cbranch_execz .LBB6_1004
; %bb.1138:                             ;   in Loop: Header=BB6_1005 Depth=2
	v_add_co_u32_e32 v15, vcc, 2, v15
	v_addc_co_u32_e32 v16, vcc, 0, v16, vcc
	s_waitcnt vmcnt(0)
	flat_store_dwordx2 v[42:43], v[15:16]
	s_branch .LBB6_1004
.LBB6_1139:                             ;   in Loop: Header=BB6_47 Depth=1
	s_or_b64 exec, exec, s[40:41]
.LBB6_1140:                             ;   in Loop: Header=BB6_47 Depth=1
	s_or_b64 exec, exec, s[28:29]
	v_cmp_gt_i32_e32 vcc, 2, v1
	s_and_saveexec_b64 s[28:29], vcc
	s_cbranch_execz .LBB6_46
; %bb.1141:                             ;   in Loop: Header=BB6_47 Depth=1
	v_cmp_eq_u32_e64 s[42:43], 0, v1
	s_mov_b64 s[40:41], 0
	s_branch .LBB6_1143
.LBB6_1142:                             ;   in Loop: Header=BB6_1143 Depth=2
	s_or_b64 exec, exec, s[26:27]
	v_add_u32_e32 v7, v5, v7
	s_mov_b64 s[42:43], 0
	s_andn2_b64 exec, exec, s[40:41]
	s_cbranch_execz .LBB6_45
.LBB6_1143:                             ;   Parent Loop BB6_47 Depth=1
                                        ; =>  This Loop Header: Depth=2
                                        ;       Child Loop BB6_1149 Depth 3
                                        ;       Child Loop BB6_1173 Depth 3
	;; [unrolled: 1-line block ×3, first 2 shown]
	v_and_b32_e32 v1, 4, v45
	v_cmp_ne_u32_e32 vcc, 0, v1
	s_and_saveexec_b64 s[74:75], vcc
	s_cbranch_execz .LBB6_1165
; %bb.1144:                             ;   in Loop: Header=BB6_1143 Depth=2
	v_add_co_u32_e32 v3, vcc, 2, v15
	v_addc_co_u32_e32 v4, vcc, 0, v16, vcc
	s_waitcnt vmcnt(0) lgkmcnt(0)
	v_cmp_lt_u64_e32 vcc, v[37:38], v[3:4]
	s_and_saveexec_b64 s[76:77], vcc
	s_cbranch_execz .LBB6_1156
; %bb.1145:                             ;   in Loop: Header=BB6_1143 Depth=2
	v_and_b32_e32 v1, 64, v45
	s_mov_b32 s48, 0
	v_cmp_eq_u32_e32 vcc, 0, v1
	s_mov_b64 s[78:79], 0
                                        ; implicit-def: $sgpr88_sgpr89
                                        ; implicit-def: $sgpr90_sgpr91
                                        ; implicit-def: $sgpr92_sgpr93
	s_branch .LBB6_1149
.LBB6_1146:                             ;   in Loop: Header=BB6_1149 Depth=3
	s_waitcnt vmcnt(0) lgkmcnt(0)
	v_cmp_ge_u64_e64 s[26:27], v[37:38], v[3:4]
	s_or_b64 s[34:35], s[34:35], exec
	s_orn2_b64 s[30:31], s[26:27], exec
.LBB6_1147:                             ;   in Loop: Header=BB6_1149 Depth=3
	s_or_b64 exec, exec, s[38:39]
	s_andn2_b64 s[26:27], s[92:93], exec
	s_and_b64 s[92:93], s[34:35], exec
	s_or_b64 s[92:93], s[26:27], s[92:93]
	s_andn2_b64 s[26:27], s[90:91], exec
	s_and_b64 s[90:91], s[30:31], exec
	s_or_b64 s[90:91], s[26:27], s[90:91]
.LBB6_1148:                             ;   in Loop: Header=BB6_1149 Depth=3
	s_or_b64 exec, exec, s[94:95]
	s_and_b64 s[26:27], exec, s[90:91]
	s_or_b64 s[78:79], s[26:27], s[78:79]
	s_andn2_b64 s[26:27], s[88:89], exec
	s_and_b64 s[88:89], s[92:93], exec
	s_or_b64 s[88:89], s[26:27], s[88:89]
	s_andn2_b64 exec, exec, s[78:79]
	s_cbranch_execz .LBB6_1153
.LBB6_1149:                             ;   Parent Loop BB6_47 Depth=1
                                        ;     Parent Loop BB6_1143 Depth=2
                                        ; =>    This Inner Loop Header: Depth=3
	s_sleep 1
	s_waitcnt vmcnt(0) lgkmcnt(0)
	flat_load_dwordx2 v[37:38], v[42:43] glc
	s_or_b64 s[92:93], s[92:93], exec
	s_or_b64 s[90:91], s[90:91], exec
                                        ; implicit-def: $vgpr1
	s_and_saveexec_b64 s[94:95], vcc
	s_cbranch_execz .LBB6_1148
; %bb.1150:                             ;   in Loop: Header=BB6_1149 Depth=3
	s_cmpk_lt_i32 s48, 0x270f
	s_cselect_b64 s[36:37], -1, 0
	s_cmpk_gt_i32 s48, 0x270e
	s_mov_b64 s[30:31], -1
	s_cbranch_scc0 .LBB6_1152
; %bb.1151:                             ;   in Loop: Header=BB6_1149 Depth=3
	s_trap 2
	ds_read_b64 v[1:2], v0
	s_andn2_b64 s[36:37], s[36:37], exec
	s_mov_b32 s48, 0
	s_mov_b64 s[34:35], 0
	s_waitcnt vmcnt(0) lgkmcnt(0)
	flat_load_dword v1, v[1:2] glc
	s_waitcnt vmcnt(0) lgkmcnt(0)
	buffer_wbinvl1_vol
	v_cmp_eq_u32_e64 s[26:27], 0, v1
	s_and_b64 s[26:27], s[26:27], exec
	s_or_b64 s[36:37], s[36:37], s[26:27]
	s_and_saveexec_b64 s[38:39], s[36:37]
	s_cbranch_execz .LBB6_1147
	s_branch .LBB6_1146
.LBB6_1152:                             ;   in Loop: Header=BB6_1149 Depth=3
	s_add_i32 s48, s48, 1
	s_mov_b64 s[34:35], -1
                                        ; implicit-def: $vgpr1
	s_and_saveexec_b64 s[38:39], s[36:37]
	s_cbranch_execz .LBB6_1147
	s_branch .LBB6_1146
.LBB6_1153:                             ;   in Loop: Header=BB6_1143 Depth=2
	s_or_b64 exec, exec, s[78:79]
	s_xor_b64 s[26:27], s[88:89], -1
	s_and_saveexec_b64 s[78:79], s[26:27]
	s_xor_b64 s[26:27], exec, s[78:79]
	s_cbranch_execz .LBB6_1155
; %bb.1154:                             ;   in Loop: Header=BB6_1143 Depth=2
	v_or_b32_e32 v45, 64, v45
	s_waitcnt lgkmcnt(0)
	ds_write_b32 v0, v1
	s_trap 2
.LBB6_1155:                             ;   in Loop: Header=BB6_1143 Depth=2
	s_or_b64 exec, exec, s[26:27]
.LBB6_1156:                             ;   in Loop: Header=BB6_1143 Depth=2
	s_or_b64 exec, exec, s[76:77]
	v_and_b32_e32 v1, 0x100, v45
	v_cmp_ne_u32_e32 vcc, 0, v1
	v_and_b32_e32 v1, 7, v15
	s_mov_b64 s[26:27], -1
	;;#ASMSTART
	s_wakeup
	;;#ASMEND
                                        ; implicit-def: $vgpr8_vgpr9
	s_and_saveexec_b64 s[76:77], vcc
	s_cbranch_execz .LBB6_1160
; %bb.1157:                             ;   in Loop: Header=BB6_1143 Depth=2
	buffer_load_dword v8, off, s[0:3], s33 offset:120 ; 4-byte Folded Reload
	buffer_load_dword v9, off, s[0:3], s33 offset:124 ; 4-byte Folded Reload
	;; [unrolled: 1-line block ×4, first 2 shown]
	s_waitcnt vmcnt(0)
	v_mad_u64_u32 v[10:11], s[26:27], v1, 24, v[8:9]
                                        ; implicit-def: $vgpr8_vgpr9
	flat_load_dword v2, v[10:11]
	s_waitcnt vmcnt(0) lgkmcnt(0)
	v_cmp_ne_u32_e32 vcc, 1, v2
	v_cmp_eq_u32_e64 s[26:27], 1, v2
	s_and_saveexec_b64 s[78:79], s[26:27]
	s_cbranch_execz .LBB6_1159
; %bb.1158:                             ;   in Loop: Header=BB6_1143 Depth=2
	flat_load_dword v8, v[10:11] offset:4 glc
	s_waitcnt vmcnt(0) lgkmcnt(0)
	v_ashrrev_i32_e32 v9, 31, v8
.LBB6_1159:                             ;   in Loop: Header=BB6_1143 Depth=2
	s_or_b64 exec, exec, s[78:79]
	s_orn2_b64 s[26:27], vcc, exec
.LBB6_1160:                             ;   in Loop: Header=BB6_1143 Depth=2
	s_or_b64 exec, exec, s[76:77]
	s_and_saveexec_b64 s[76:77], s[26:27]
	s_cbranch_execz .LBB6_1162
; %bb.1161:                             ;   in Loop: Header=BB6_1143 Depth=2
	buffer_load_dword v2, off, s[0:3], s33 offset:144 ; 4-byte Folded Reload
	s_waitcnt vmcnt(0)
	v_mad_i64_i32 v[8:9], s[26:27], v1, v2, 0
.LBB6_1162:                             ;   in Loop: Header=BB6_1143 Depth=2
	s_or_b64 exec, exec, s[76:77]
	v_add_co_u32_e32 v1, vcc, v48, v8
	v_addc_co_u32_e32 v2, vcc, v49, v9, vcc
	ds_write_b64 v0, v[1:2] offset:720
	v_and_b32_e32 v1, 0x2000, v45
	v_cmp_ne_u32_e32 vcc, 0, v1
	s_and_saveexec_b64 s[26:27], vcc
	s_cbranch_execz .LBB6_1164
; %bb.1163:                             ;   in Loop: Header=BB6_1143 Depth=2
	ds_read_b64 v[1:2], v0 offset:872
	s_waitcnt lgkmcnt(0)
	v_add_co_u32_e32 v1, vcc, 1, v1
	v_addc_co_u32_e32 v2, vcc, 0, v2, vcc
	ds_write_b64 v0, v[1:2] offset:872
.LBB6_1164:                             ;   in Loop: Header=BB6_1143 Depth=2
	s_or_b64 exec, exec, s[26:27]
	v_mov_b32_e32 v16, v4
	v_mov_b32_e32 v15, v3
.LBB6_1165:                             ;   in Loop: Header=BB6_1143 Depth=2
	s_or_b64 exec, exec, s[74:75]
	s_xor_b64 s[26:27], s[42:43], -1
	s_and_b64 s[26:27], exec, s[26:27]
	s_or_b64 s[40:41], s[26:27], s[40:41]
	s_and_saveexec_b64 s[26:27], s[10:11]
	s_cbranch_execz .LBB6_1184
; %bb.1166:                             ;   in Loop: Header=BB6_1143 Depth=2
	s_and_saveexec_b64 s[42:43], s[56:57]
	s_xor_b64 s[42:43], exec, s[42:43]
	s_cbranch_execz .LBB6_1181
; %bb.1167:                             ;   in Loop: Header=BB6_1143 Depth=2
	s_and_saveexec_b64 s[74:75], s[16:17]
	s_cbranch_execz .LBB6_1180
; %bb.1168:                             ;   in Loop: Header=BB6_1143 Depth=2
	s_mov_b64 s[78:79], exec
	v_mbcnt_lo_u32_b32 v1, s78, 0
	v_mbcnt_hi_u32_b32 v1, s79, v1
	v_cmp_eq_u32_e32 vcc, 0, v1
	s_waitcnt vmcnt(0) lgkmcnt(0)
	buffer_wbinvl1_vol
	s_and_saveexec_b64 s[76:77], vcc
	s_cbranch_execz .LBB6_1170
; %bb.1169:                             ;   in Loop: Header=BB6_1143 Depth=2
	s_bcnt1_i32_b64 s78, s[78:79]
	v_mov_b32_e32 v1, s78
	v_mov_b32_e32 v2, v51
	ds_add_u64 v0, v[1:2]
	s_trap 2
.LBB6_1170:                             ;   in Loop: Header=BB6_1143 Depth=2
	s_or_b64 exec, exec, s[76:77]
	s_trap 2
	ds_read_b64 v[1:2], v0
	s_waitcnt lgkmcnt(0)
	v_add_co_u32_e32 v56, vcc, v56, v53
	v_addc_co_u32_e32 v57, vcc, 0, v57, vcc
	v_cmp_lt_u64_e32 vcc, v[1:2], v[56:57]
	s_and_saveexec_b64 s[76:77], vcc
	s_cbranch_execz .LBB6_1179
; %bb.1171:                             ;   in Loop: Header=BB6_1143 Depth=2
	s_mov_b32 s30, 0
	s_mov_b64 s[78:79], 0
                                        ; implicit-def: $sgpr88_sgpr89
                                        ; implicit-def: $sgpr90_sgpr91
	s_branch .LBB6_1173
.LBB6_1172:                             ;   in Loop: Header=BB6_1173 Depth=3
	s_or_b64 exec, exec, s[94:95]
	s_and_b64 s[92:93], exec, vcc
	s_or_b64 s[78:79], s[92:93], s[78:79]
	s_andn2_b64 s[88:89], s[88:89], exec
	s_and_b64 s[92:93], s[90:91], exec
	s_or_b64 s[88:89], s[88:89], s[92:93]
	s_andn2_b64 exec, exec, s[78:79]
	s_cbranch_execz .LBB6_1177
.LBB6_1173:                             ;   Parent Loop BB6_47 Depth=1
                                        ;     Parent Loop BB6_1143 Depth=2
                                        ; =>    This Inner Loop Header: Depth=3
	s_add_i32 s30, s30, 1
	s_cmpk_lg_i32 s30, 0x2710
	s_cselect_b64 s[92:93], -1, 0
	s_and_b64 vcc, exec, s[92:93]
	s_cbranch_vccz .LBB6_1175
; %bb.1174:                             ;   in Loop: Header=BB6_1173 Depth=3
	s_mov_b64 vcc, -1
	s_or_b64 s[90:91], s[90:91], exec
	s_and_saveexec_b64 s[94:95], s[92:93]
	s_cbranch_execz .LBB6_1172
	s_branch .LBB6_1176
.LBB6_1175:                             ;   in Loop: Header=BB6_1173 Depth=3
	s_trap 2
	ds_read_b64 v[1:2], v0
	s_andn2_b64 s[92:93], s[92:93], exec
	s_mov_b32 s30, 0
	s_waitcnt lgkmcnt(0)
	flat_load_dword v1, v[1:2] glc
	s_waitcnt vmcnt(0) lgkmcnt(0)
	buffer_wbinvl1_vol
	v_cmp_eq_u32_e32 vcc, 0, v1
	s_and_b64 s[94:95], vcc, exec
	s_or_b64 s[92:93], s[92:93], s[94:95]
	s_mov_b64 vcc, -1
	s_or_b64 s[90:91], s[90:91], exec
	s_and_saveexec_b64 s[94:95], s[92:93]
	s_cbranch_execz .LBB6_1172
.LBB6_1176:                             ;   in Loop: Header=BB6_1173 Depth=3
	s_sleep 1
	s_trap 2
	ds_read_b64 v[1:2], v0
	s_waitcnt lgkmcnt(0)
	s_andn2_b64 s[90:91], s[90:91], exec
	v_cmp_ge_u64_e32 vcc, v[1:2], v[56:57]
	s_orn2_b64 vcc, vcc, exec
	s_branch .LBB6_1172
.LBB6_1177:                             ;   in Loop: Header=BB6_1143 Depth=2
	s_or_b64 exec, exec, s[78:79]
	s_and_saveexec_b64 s[78:79], s[88:89]
	s_xor_b64 s[78:79], exec, s[78:79]
	s_cbranch_execz .LBB6_1179
; %bb.1178:                             ;   in Loop: Header=BB6_1143 Depth=2
	ds_write_b32 v0, v54
	s_trap 2
.LBB6_1179:                             ;   in Loop: Header=BB6_1143 Depth=2
	s_or_b64 exec, exec, s[76:77]
	;;#ASMSTART
	s_wakeup
	;;#ASMEND
.LBB6_1180:                             ;   in Loop: Header=BB6_1143 Depth=2
	s_or_b64 exec, exec, s[74:75]
.LBB6_1181:                             ;   in Loop: Header=BB6_1143 Depth=2
	s_andn2_saveexec_b64 s[42:43], s[42:43]
	s_cbranch_execz .LBB6_1183
; %bb.1182:                             ;   in Loop: Header=BB6_1143 Depth=2
	s_waitcnt vmcnt(0) lgkmcnt(0)
	buffer_wbinvl1_vol
	s_barrier
.LBB6_1183:                             ;   in Loop: Header=BB6_1143 Depth=2
	s_or_b64 exec, exec, s[42:43]
.LBB6_1184:                             ;   in Loop: Header=BB6_1143 Depth=2
	s_or_b64 exec, exec, s[26:27]
	v_sub_u32_e32 v1, v0, v7
	v_min_i32_e32 v5, v5, v1
	s_and_saveexec_b64 s[26:27], s[24:25]
	s_xor_b64 s[26:27], exec, s[26:27]
	s_cbranch_execz .LBB6_1188
; %bb.1185:                             ;   in Loop: Header=BB6_1143 Depth=2
	s_trap 2
	ds_read_b32 v1, v0
	v_cmp_lt_i32_e32 vcc, 0, v5
	v_and_b32_e32 v2, 16, v45
	s_waitcnt lgkmcnt(0)
	v_readfirstlane_b32 s42, v1
	s_cmp_eq_u32 s42, 0
	s_cselect_b64 s[42:43], -1, 0
	s_and_b64 s[42:43], vcc, s[42:43]
	v_cmp_ne_u32_e32 vcc, 0, v2
	s_and_b64 s[74:75], vcc, s[42:43]
	s_and_saveexec_b64 s[42:43], s[74:75]
	s_cbranch_execz .LBB6_1187
; %bb.1186:                             ;   in Loop: Header=BB6_1143 Depth=2
	s_waitcnt vmcnt(0)
	buffer_wbinvl1_vol
.LBB6_1187:                             ;   in Loop: Header=BB6_1143 Depth=2
	s_or_b64 exec, exec, s[42:43]
.LBB6_1188:                             ;   in Loop: Header=BB6_1143 Depth=2
	s_andn2_saveexec_b64 s[26:27], s[26:27]
	s_cbranch_execz .LBB6_1207
; %bb.1189:                             ;   in Loop: Header=BB6_1143 Depth=2
	s_and_saveexec_b64 s[42:43], s[56:57]
	s_xor_b64 s[42:43], exec, s[42:43]
	s_cbranch_execz .LBB6_1204
; %bb.1190:                             ;   in Loop: Header=BB6_1143 Depth=2
	s_and_saveexec_b64 s[74:75], s[16:17]
	s_cbranch_execz .LBB6_1203
; %bb.1191:                             ;   in Loop: Header=BB6_1143 Depth=2
	s_mov_b64 s[78:79], exec
	v_mbcnt_lo_u32_b32 v1, s78, 0
	v_mbcnt_hi_u32_b32 v1, s79, v1
	v_cmp_eq_u32_e32 vcc, 0, v1
	;;#ASMSTART
	s_waitcnt lgkmcnt(0) vmcnt(0)
	;;#ASMEND
	s_and_saveexec_b64 s[76:77], vcc
	s_cbranch_execz .LBB6_1193
; %bb.1192:                             ;   in Loop: Header=BB6_1143 Depth=2
	s_bcnt1_i32_b64 s78, s[78:79]
	v_mov_b32_e32 v1, s78
	v_mov_b32_e32 v2, v51
	s_waitcnt lgkmcnt(0)
	ds_add_u64 v0, v[1:2]
	s_trap 2
.LBB6_1193:                             ;   in Loop: Header=BB6_1143 Depth=2
	s_or_b64 exec, exec, s[76:77]
	s_trap 2
	ds_read_b64 v[1:2], v0
	s_waitcnt lgkmcnt(0)
	v_add_co_u32_e32 v56, vcc, v56, v53
	v_addc_co_u32_e32 v57, vcc, 0, v57, vcc
	v_cmp_lt_u64_e32 vcc, v[1:2], v[56:57]
	s_and_saveexec_b64 s[76:77], vcc
	s_cbranch_execz .LBB6_1202
; %bb.1194:                             ;   in Loop: Header=BB6_1143 Depth=2
	s_mov_b32 s30, 0
	s_mov_b64 s[78:79], 0
                                        ; implicit-def: $sgpr88_sgpr89
                                        ; implicit-def: $sgpr90_sgpr91
	s_branch .LBB6_1196
.LBB6_1195:                             ;   in Loop: Header=BB6_1196 Depth=3
	s_or_b64 exec, exec, s[94:95]
	s_and_b64 s[92:93], exec, vcc
	s_or_b64 s[78:79], s[92:93], s[78:79]
	s_andn2_b64 s[88:89], s[88:89], exec
	s_and_b64 s[92:93], s[90:91], exec
	s_or_b64 s[88:89], s[88:89], s[92:93]
	s_andn2_b64 exec, exec, s[78:79]
	s_cbranch_execz .LBB6_1200
.LBB6_1196:                             ;   Parent Loop BB6_47 Depth=1
                                        ;     Parent Loop BB6_1143 Depth=2
                                        ; =>    This Inner Loop Header: Depth=3
	s_add_i32 s30, s30, 1
	s_cmpk_lg_i32 s30, 0x2710
	s_cselect_b64 s[92:93], -1, 0
	s_and_b64 vcc, exec, s[92:93]
	s_cbranch_vccz .LBB6_1198
; %bb.1197:                             ;   in Loop: Header=BB6_1196 Depth=3
	s_mov_b64 vcc, -1
	s_or_b64 s[90:91], s[90:91], exec
	s_and_saveexec_b64 s[94:95], s[92:93]
	s_cbranch_execz .LBB6_1195
	s_branch .LBB6_1199
.LBB6_1198:                             ;   in Loop: Header=BB6_1196 Depth=3
	s_trap 2
	ds_read_b64 v[1:2], v0
	s_andn2_b64 s[92:93], s[92:93], exec
	s_mov_b32 s30, 0
	s_waitcnt vmcnt(0) lgkmcnt(0)
	flat_load_dword v1, v[1:2] glc
	s_waitcnt vmcnt(0) lgkmcnt(0)
	buffer_wbinvl1_vol
	v_cmp_eq_u32_e32 vcc, 0, v1
	s_and_b64 s[94:95], vcc, exec
	s_or_b64 s[92:93], s[92:93], s[94:95]
	s_mov_b64 vcc, -1
	s_or_b64 s[90:91], s[90:91], exec
	s_and_saveexec_b64 s[94:95], s[92:93]
	s_cbranch_execz .LBB6_1195
.LBB6_1199:                             ;   in Loop: Header=BB6_1196 Depth=3
	s_sleep 1
	s_trap 2
	ds_read_b64 v[1:2], v0
	s_waitcnt lgkmcnt(0)
	s_andn2_b64 s[90:91], s[90:91], exec
	v_cmp_ge_u64_e32 vcc, v[1:2], v[56:57]
	s_orn2_b64 vcc, vcc, exec
	s_branch .LBB6_1195
.LBB6_1200:                             ;   in Loop: Header=BB6_1143 Depth=2
	s_or_b64 exec, exec, s[78:79]
	s_and_saveexec_b64 s[78:79], s[88:89]
	s_xor_b64 s[78:79], exec, s[78:79]
	s_cbranch_execz .LBB6_1202
; %bb.1201:                             ;   in Loop: Header=BB6_1143 Depth=2
	ds_write_b32 v0, v54
	s_trap 2
.LBB6_1202:                             ;   in Loop: Header=BB6_1143 Depth=2
	s_or_b64 exec, exec, s[76:77]
	;;#ASMSTART
	s_wakeup
	;;#ASMEND
.LBB6_1203:                             ;   in Loop: Header=BB6_1143 Depth=2
	s_or_b64 exec, exec, s[74:75]
.LBB6_1204:                             ;   in Loop: Header=BB6_1143 Depth=2
	s_andn2_saveexec_b64 s[42:43], s[42:43]
	s_cbranch_execz .LBB6_1206
; %bb.1205:                             ;   in Loop: Header=BB6_1143 Depth=2
	;;#ASMSTART
	s_waitcnt lgkmcnt(0) vmcnt(0)
	;;#ASMEND
	s_waitcnt vmcnt(0) lgkmcnt(0)
	s_barrier
.LBB6_1206:                             ;   in Loop: Header=BB6_1143 Depth=2
	s_or_b64 exec, exec, s[42:43]
.LBB6_1207:                             ;   in Loop: Header=BB6_1143 Depth=2
	s_or_b64 exec, exec, s[26:27]
	v_and_b32_e32 v1, 32, v45
	v_cmp_ne_u32_e32 vcc, 0, v1
	s_and_saveexec_b64 s[26:27], vcc
	s_cbranch_execz .LBB6_1142
; %bb.1208:                             ;   in Loop: Header=BB6_1143 Depth=2
	v_add_co_u32_e32 v15, vcc, 2, v15
	v_addc_co_u32_e32 v16, vcc, 0, v16, vcc
	s_waitcnt vmcnt(0)
	flat_store_dwordx2 v[42:43], v[15:16]
	s_branch .LBB6_1142
.LBB6_1209:
	v_readlane_b32 s4, v62, 6
	v_readlane_b32 s5, v62, 7
	s_or_b64 exec, exec, s[4:5]
	v_readlane_b32 s28, v62, 4
	v_readlane_b32 s29, v62, 5
.LBB6_1210:
	v_readlane_b32 s4, v62, 2
	v_readlane_b32 s5, v62, 3
	s_or_b64 exec, exec, s[4:5]
	v_and_b32_e32 v0, 0x800, v45
	v_cmp_eq_u32_e32 vcc, 0, v0
	s_and_saveexec_b64 s[6:7], vcc
	s_cbranch_execz .LBB6_1243
; %bb.1211:
	v_and_b32_e32 v0, 48, v45
	v_cmp_ne_u32_e32 vcc, 0, v0
	s_and_saveexec_b64 s[4:5], vcc
	s_cbranch_execz .LBB6_1213
; %bb.1212:
	buffer_load_dword v0, off, s[0:3], s33 offset:420 ; 4-byte Folded Reload
	buffer_load_dword v1, off, s[0:3], s33 offset:424 ; 4-byte Folded Reload
	s_waitcnt vmcnt(0)
	flat_store_dwordx2 v[0:1], v[15:16] offset:104
.LBB6_1213:
	s_or_b64 exec, exec, s[4:5]
	s_movk_i32 s4, 0x88
	v_and_b32_e32 v0, 0x88, v45
	v_cmp_eq_u32_e32 vcc, s4, v0
	s_and_saveexec_b64 s[10:11], vcc
	s_cbranch_execz .LBB6_1223
; %bb.1214:
	buffer_load_dword v1, off, s[0:3], s33 offset:120 ; 4-byte Folded Reload
	buffer_load_dword v2, off, s[0:3], s33 offset:124 ; 4-byte Folded Reload
	;; [unrolled: 1-line block ×4, first 2 shown]
	v_add_u32_e32 v0, 6, v15
	v_and_b32_e32 v0, 7, v0
	s_waitcnt vmcnt(0)
	v_and_b32_e32 v4, 64, v45
	s_mov_b32 s8, 0
	v_mad_u64_u32 v[2:3], s[4:5], v0, 24, v[1:2]
	v_cmp_eq_u32_e64 s[4:5], 0, v4
	flat_load_dwordx2 v[0:1], v[2:3] offset:8 glc
	s_waitcnt vmcnt(0) lgkmcnt(0)
	v_cmp_ne_u64_e32 vcc, -1, v[0:1]
	s_and_b64 s[4:5], vcc, s[4:5]
	s_and_b64 exec, exec, s[4:5]
	s_cbranch_execz .LBB6_1223
; %bb.1215:
	s_mov_b64 s[4:5], 0
                                        ; implicit-def: $sgpr12_sgpr13
                                        ; implicit-def: $sgpr14_sgpr15
	s_branch .LBB6_1218
.LBB6_1216:                             ;   in Loop: Header=BB6_1218 Depth=1
	flat_load_dwordx2 v[4:5], v[2:3] offset:8 glc
	s_waitcnt vmcnt(0)
	s_andn2_b64 s[14:15], s[14:15], exec
	s_waitcnt lgkmcnt(0)
	v_cmp_eq_u64_e32 vcc, -1, v[4:5]
	s_orn2_b64 s[18:19], vcc, exec
.LBB6_1217:                             ;   in Loop: Header=BB6_1218 Depth=1
	s_or_b64 exec, exec, s[20:21]
	s_and_b64 s[16:17], exec, s[18:19]
	s_or_b64 s[4:5], s[16:17], s[4:5]
	s_andn2_b64 s[12:13], s[12:13], exec
	s_and_b64 s[16:17], s[14:15], exec
	s_or_b64 s[12:13], s[12:13], s[16:17]
	s_andn2_b64 exec, exec, s[4:5]
	s_cbranch_execz .LBB6_1221
.LBB6_1218:                             ; =>This Inner Loop Header: Depth=1
	s_cmpk_lt_i32 s8, 0x270f
	s_cselect_b64 s[16:17], -1, 0
	s_and_b64 vcc, exec, s[16:17]
	s_cbranch_vccnz .LBB6_1220
; %bb.1219:                             ;   in Loop: Header=BB6_1218 Depth=1
	s_trap 2
	ds_read_b64 v[0:1], v0
	s_andn2_b64 s[16:17], s[16:17], exec
	s_mov_b32 s8, 0
	s_waitcnt lgkmcnt(0)
	flat_load_dword v0, v[0:1] glc
	s_waitcnt vmcnt(0) lgkmcnt(0)
	buffer_wbinvl1_vol
	v_cmp_eq_u32_e32 vcc, 0, v0
	s_and_b64 s[18:19], vcc, exec
	s_or_b64 s[16:17], s[16:17], s[18:19]
	s_mov_b64 s[18:19], -1
	s_or_b64 s[14:15], s[14:15], exec
	s_and_saveexec_b64 s[20:21], s[16:17]
	s_cbranch_execz .LBB6_1217
	s_branch .LBB6_1216
.LBB6_1220:                             ;   in Loop: Header=BB6_1218 Depth=1
	s_add_i32 s8, s8, 1
                                        ; implicit-def: $vgpr0
	s_mov_b64 s[18:19], -1
	s_or_b64 s[14:15], s[14:15], exec
	s_and_saveexec_b64 s[20:21], s[16:17]
	s_cbranch_execz .LBB6_1217
	s_branch .LBB6_1216
.LBB6_1221:
	s_or_b64 exec, exec, s[4:5]
	s_and_saveexec_b64 s[4:5], s[12:13]
	s_xor_b64 s[4:5], exec, s[4:5]
	s_cbranch_execz .LBB6_1223
; %bb.1222:
	ds_write_b32 v0, v0
	s_trap 2
.LBB6_1223:
	s_or_b64 exec, exec, s[10:11]
	v_and_b32_e32 v0, 0x2000, v45
	v_cmp_ne_u32_e32 vcc, 0, v0
	s_and_saveexec_b64 s[4:5], vcc
	s_cbranch_execz .LBB6_1225
; %bb.1224:
	s_trap 2
	ds_read_b64 v[0:1], v0
	buffer_load_dword v2, off, s[0:3], s33 offset:436 ; 4-byte Folded Reload
	buffer_load_dword v3, off, s[0:3], s33 offset:440 ; 4-byte Folded Reload
	s_waitcnt vmcnt(0) lgkmcnt(0)
	flat_store_dwordx2 v[2:3], v[0:1] offset:16
.LBB6_1225:
	s_or_b64 exec, exec, s[4:5]
	buffer_load_dword v0, off, s[0:3], s33 offset:416 ; 4-byte Folded Reload
	s_waitcnt vmcnt(0)
	v_cmp_ne_u32_e32 vcc, 64, v0
	s_and_b64 exec, exec, vcc
	s_cbranch_execz .LBB6_1243
; %bb.1226:
	buffer_load_dword v0, off, s[0:3], s33 offset:416 ; 4-byte Folded Reload
	buffer_load_dword v1, off, s[0:3], s33 offset:432 ; 4-byte Folded Reload
	s_waitcnt vmcnt(0)
	v_cmp_ne_u32_sdwa s[4:5], v0, v1 src0_sel:DWORD src1_sel:WORD_0
	s_and_saveexec_b64 s[8:9], s[4:5]
	s_xor_b64 s[4:5], exec, s[8:9]
	s_cbranch_execz .LBB6_1241
; %bb.1227:
	buffer_load_dword v0, off, s[0:3], s33 offset:428 ; 4-byte Folded Reload
	s_waitcnt vmcnt(0)
	v_and_b32_e32 v0, 63, v0
	v_cmp_eq_u32_e32 vcc, 0, v0
	s_and_saveexec_b64 s[10:11], vcc
	s_cbranch_execz .LBB6_1240
; %bb.1228:
	s_mov_b64 s[14:15], exec
	v_mbcnt_lo_u32_b32 v0, s14, 0
	v_mbcnt_hi_u32_b32 v0, s15, v0
	v_cmp_eq_u32_e32 vcc, 0, v0
	s_waitcnt lgkmcnt(0)
	buffer_wbinvl1_vol
	s_and_saveexec_b64 s[12:13], vcc
	s_cbranch_execz .LBB6_1230
; %bb.1229:
	s_bcnt1_i32_b64 s8, s[14:15]
	v_mov_b32_e32 v0, s8
	v_mov_b32_e32 v1, 0
	ds_add_u64 v0, v[0:1]
	s_trap 2
.LBB6_1230:
	s_or_b64 exec, exec, s[12:13]
	buffer_load_dword v0, off, s[0:3], s33 offset:416 ; 4-byte Folded Reload
	s_trap 2
	s_waitcnt vmcnt(0)
	v_lshrrev_b32_e32 v0, 6, v0
	ds_read_b64 v[2:3], v0
	s_waitcnt lgkmcnt(0)
	v_add_co_u32_e32 v0, vcc, v56, v0
	v_addc_co_u32_e32 v1, vcc, 0, v57, vcc
	v_cmp_lt_u64_e32 vcc, v[2:3], v[0:1]
	s_and_saveexec_b64 s[12:13], vcc
	s_cbranch_execz .LBB6_1239
; %bb.1231:
	s_mov_b32 s8, 0
	s_mov_b64 s[14:15], 0
                                        ; implicit-def: $sgpr16_sgpr17
                                        ; implicit-def: $sgpr18_sgpr19
	s_branch .LBB6_1233
.LBB6_1232:                             ;   in Loop: Header=BB6_1233 Depth=1
	s_or_b64 exec, exec, s[22:23]
	s_and_b64 s[20:21], exec, s[24:25]
	s_or_b64 s[14:15], s[20:21], s[14:15]
	s_andn2_b64 s[16:17], s[16:17], exec
	s_and_b64 s[20:21], s[18:19], exec
	s_or_b64 s[16:17], s[16:17], s[20:21]
	s_andn2_b64 exec, exec, s[14:15]
	s_cbranch_execz .LBB6_1237
.LBB6_1233:                             ; =>This Inner Loop Header: Depth=1
	s_add_i32 s8, s8, 1
	s_cmpk_lg_i32 s8, 0x2710
	s_cselect_b64 s[20:21], -1, 0
	s_and_b64 vcc, exec, s[20:21]
	s_cbranch_vccz .LBB6_1235
; %bb.1234:                             ;   in Loop: Header=BB6_1233 Depth=1
	s_mov_b64 s[24:25], -1
	s_or_b64 s[18:19], s[18:19], exec
	s_and_saveexec_b64 s[22:23], s[20:21]
	s_cbranch_execz .LBB6_1232
	s_branch .LBB6_1236
.LBB6_1235:                             ;   in Loop: Header=BB6_1233 Depth=1
	s_trap 2
	ds_read_b64 v[2:3], v0
	s_andn2_b64 s[20:21], s[20:21], exec
	s_mov_b32 s8, 0
	s_waitcnt lgkmcnt(0)
	flat_load_dword v2, v[2:3] glc
	s_waitcnt vmcnt(0) lgkmcnt(0)
	buffer_wbinvl1_vol
	v_cmp_eq_u32_e32 vcc, 0, v2
	s_and_b64 s[22:23], vcc, exec
	s_or_b64 s[20:21], s[20:21], s[22:23]
	s_mov_b64 s[24:25], -1
	s_or_b64 s[18:19], s[18:19], exec
	s_and_saveexec_b64 s[22:23], s[20:21]
	s_cbranch_execz .LBB6_1232
.LBB6_1236:                             ;   in Loop: Header=BB6_1233 Depth=1
	s_sleep 1
	s_trap 2
	ds_read_b64 v[2:3], v0
	s_waitcnt lgkmcnt(0)
	s_andn2_b64 s[18:19], s[18:19], exec
	v_cmp_ge_u64_e32 vcc, v[2:3], v[0:1]
	s_orn2_b64 s[24:25], vcc, exec
	s_branch .LBB6_1232
.LBB6_1237:
	s_or_b64 exec, exec, s[14:15]
	s_and_saveexec_b64 s[8:9], s[16:17]
	s_xor_b64 s[8:9], exec, s[8:9]
	s_cbranch_execz .LBB6_1239
; %bb.1238:
	v_mov_b32_e32 v0, 1
	ds_write_b32 v0, v0
	s_trap 2
.LBB6_1239:
	s_or_b64 exec, exec, s[12:13]
	;;#ASMSTART
	s_wakeup
	;;#ASMEND
.LBB6_1240:
	s_or_b64 exec, exec, s[10:11]
.LBB6_1241:
	s_andn2_saveexec_b64 s[4:5], s[4:5]
	s_cbranch_execz .LBB6_1243
; %bb.1242:
	s_waitcnt lgkmcnt(0)
	buffer_wbinvl1_vol
	s_barrier
.LBB6_1243:
	s_or_b64 exec, exec, s[6:7]
.LBB6_1244:
	v_readlane_b32 s4, v62, 0
	v_readlane_b32 s5, v62, 1
	s_andn2_saveexec_b64 s[26:27], s[4:5]
	s_cbranch_execz .LBB6_1246
; %bb.1245:
	s_getpc_b64 s[4:5]
	s_add_u32 s4, s4, __PRETTY_FUNCTION__._ZN10PrimitivesIh14FuncSumPostDivIhE12FanSymmetricILi1EELi0E11ProtoSimpleILi2ELi2ELi0ELi4ELi0ELi0EELi0ELb0ELi0ELi0ELi0EEC2EiiPKiS8_PKvPvmhhhP15ncclDevWorkCollP14ncclDevWorkP2pii@rel32@lo+4
	s_addc_u32 s5, s5, __PRETTY_FUNCTION__._ZN10PrimitivesIh14FuncSumPostDivIhE12FanSymmetricILi1EELi0E11ProtoSimpleILi2ELi2ELi0ELi4ELi0ELi0EELi0ELb0ELi0ELi0ELi0EEC2EiiPKiS8_PKvPvmhhhP15ncclDevWorkCollP14ncclDevWorkP2pii@rel32@hi+12
	s_getpc_b64 s[6:7]
	s_add_u32 s6, s6, __assert_fail@rel32@lo+4
	s_addc_u32 s7, s7, __assert_fail@rel32@hi+12
	s_mov_b64 s[8:9], s[28:29]
	v_mov_b32_e32 v0, s4
	v_mov_b32_e32 v1, s5
	s_swappc_b64 s[30:31], s[6:7]
	; divergent unreachable
.LBB6_1246:
	s_or_b64 exec, exec, s[26:27]
	buffer_load_dword v61, off, s[0:3], s33 ; 4-byte Folded Reload
	buffer_load_dword v60, off, s[0:3], s33 offset:4 ; 4-byte Folded Reload
	buffer_load_dword v59, off, s[0:3], s33 offset:8 ; 4-byte Folded Reload
	;; [unrolled: 1-line block ×13, first 2 shown]
	v_readlane_b32 s30, v63, 34
	v_readlane_b32 s31, v63, 35
	v_readlane_b32 s99, v63, 33
	v_readlane_b32 s98, v63, 32
	v_readlane_b32 s97, v63, 31
	v_readlane_b32 s96, v63, 30
	v_readlane_b32 s87, v63, 29
	v_readlane_b32 s86, v63, 28
	v_readlane_b32 s85, v63, 27
	v_readlane_b32 s84, v63, 26
	v_readlane_b32 s83, v63, 25
	v_readlane_b32 s82, v63, 24
	v_readlane_b32 s81, v63, 23
	v_readlane_b32 s80, v63, 22
	v_readlane_b32 s71, v63, 21
	v_readlane_b32 s70, v63, 20
	v_readlane_b32 s69, v63, 19
	v_readlane_b32 s68, v63, 18
	v_readlane_b32 s67, v63, 17
	v_readlane_b32 s66, v63, 16
	v_readlane_b32 s65, v63, 15
	v_readlane_b32 s64, v63, 14
	v_readlane_b32 s55, v63, 13
	v_readlane_b32 s54, v63, 12
	v_readlane_b32 s53, v63, 11
	v_readlane_b32 s52, v63, 10
	v_readlane_b32 s51, v63, 9
	v_readlane_b32 s50, v63, 8
	v_readlane_b32 s49, v63, 7
	v_readlane_b32 s48, v63, 6
	v_readlane_b32 s39, v63, 5
	v_readlane_b32 s38, v63, 4
	v_readlane_b32 s37, v63, 3
	v_readlane_b32 s36, v63, 2
	v_readlane_b32 s35, v63, 1
	v_readlane_b32 s34, v63, 0
	s_mov_b32 s32, s33
	v_readlane_b32 s4, v63, 36
	s_or_saveexec_b64 s[6:7], -1
	buffer_load_dword v63, off, s[0:3], s33 offset:444 ; 4-byte Folded Reload
	buffer_load_dword v62, off, s[0:3], s33 offset:448 ; 4-byte Folded Reload
	s_mov_b64 exec, s[6:7]
	s_mov_b32 s33, s4
	s_waitcnt vmcnt(0) lgkmcnt(0)
	s_setpc_b64 s[30:31]
.Lfunc_end6:
	.size	_ZN12_GLOBAL__N_17runRingIh14FuncSumPostDivIhE11ProtoSimpleILi2ELi2ELi0ELi4ELi0ELi0EELi0ELi0ELi4ELi0EEEviiP15ncclDevWorkColl, .Lfunc_end6-_ZN12_GLOBAL__N_17runRingIh14FuncSumPostDivIhE11ProtoSimpleILi2ELi2ELi0ELi4ELi0ELi0EELi0ELi0ELi4ELi0EEEviiP15ncclDevWorkColl
                                        ; -- End function
	.set .L_ZN12_GLOBAL__N_17runRingIh14FuncSumPostDivIhE11ProtoSimpleILi2ELi2ELi0ELi4ELi0ELi0EELi0ELi0ELi4ELi0EEEviiP15ncclDevWorkColl.num_vgpr, max(64, .L__assert_fail.num_vgpr)
	.set .L_ZN12_GLOBAL__N_17runRingIh14FuncSumPostDivIhE11ProtoSimpleILi2ELi2ELi0ELi4ELi0ELi0EELi0ELi0ELi4ELi0EEEviiP15ncclDevWorkColl.num_agpr, max(0, .L__assert_fail.num_agpr)
	.set .L_ZN12_GLOBAL__N_17runRingIh14FuncSumPostDivIhE11ProtoSimpleILi2ELi2ELi0ELi4ELi0ELi0EELi0ELi0ELi4ELi0EEEviiP15ncclDevWorkColl.numbered_sgpr, max(100, .L__assert_fail.numbered_sgpr)
	.set .L_ZN12_GLOBAL__N_17runRingIh14FuncSumPostDivIhE11ProtoSimpleILi2ELi2ELi0ELi4ELi0ELi0EELi0ELi0ELi4ELi0EEEviiP15ncclDevWorkColl.num_named_barrier, max(0, .L__assert_fail.num_named_barrier)
	.set .L_ZN12_GLOBAL__N_17runRingIh14FuncSumPostDivIhE11ProtoSimpleILi2ELi2ELi0ELi4ELi0ELi0EELi0ELi0ELi4ELi0EEEviiP15ncclDevWorkColl.private_seg_size, 464+max(.L__assert_fail.private_seg_size)
	.set .L_ZN12_GLOBAL__N_17runRingIh14FuncSumPostDivIhE11ProtoSimpleILi2ELi2ELi0ELi4ELi0ELi0EELi0ELi0ELi4ELi0EEEviiP15ncclDevWorkColl.uses_vcc, or(1, .L__assert_fail.uses_vcc)
	.set .L_ZN12_GLOBAL__N_17runRingIh14FuncSumPostDivIhE11ProtoSimpleILi2ELi2ELi0ELi4ELi0ELi0EELi0ELi0ELi4ELi0EEEviiP15ncclDevWorkColl.uses_flat_scratch, or(0, .L__assert_fail.uses_flat_scratch)
	.set .L_ZN12_GLOBAL__N_17runRingIh14FuncSumPostDivIhE11ProtoSimpleILi2ELi2ELi0ELi4ELi0ELi0EELi0ELi0ELi4ELi0EEEviiP15ncclDevWorkColl.has_dyn_sized_stack, or(0, .L__assert_fail.has_dyn_sized_stack)
	.set .L_ZN12_GLOBAL__N_17runRingIh14FuncSumPostDivIhE11ProtoSimpleILi2ELi2ELi0ELi4ELi0ELi0EELi0ELi0ELi4ELi0EEEviiP15ncclDevWorkColl.has_recursion, or(1, .L__assert_fail.has_recursion)
	.set .L_ZN12_GLOBAL__N_17runRingIh14FuncSumPostDivIhE11ProtoSimpleILi2ELi2ELi0ELi4ELi0ELi0EELi0ELi0ELi4ELi0EEEviiP15ncclDevWorkColl.has_indirect_call, or(0, .L__assert_fail.has_indirect_call)
	.section	.AMDGPU.csdata,"",@progbits
; Function info:
; codeLenInByte = 73056
; TotalNumSgprs: 104
; NumVgprs: 64
; ScratchSize: 528
; MemoryBound: 1
	.text
	.p2align	2                               ; -- Begin function _Z53ncclDevFunc_AllReduce_RING_SIMPLE_SumPostDiv_u8_0_0_4v
	.type	_Z53ncclDevFunc_AllReduce_RING_SIMPLE_SumPostDiv_u8_0_0_4v,@function
_Z53ncclDevFunc_AllReduce_RING_SIMPLE_SumPostDiv_u8_0_0_4v: ; @_Z53ncclDevFunc_AllReduce_RING_SIMPLE_SumPostDiv_u8_0_0_4v
; %bb.0:
	s_waitcnt vmcnt(0) expcnt(0) lgkmcnt(0)
	s_mov_b32 s4, s33
	s_mov_b32 s33, s32
	s_or_saveexec_b64 s[6:7], -1
	buffer_store_dword v43, off, s[0:3], s33 offset:20 ; 4-byte Folded Spill
	buffer_store_dword v44, off, s[0:3], s33 offset:24 ; 4-byte Folded Spill
	s_mov_b64 exec, s[6:7]
	v_writelane_b32 v44, s4, 38
	v_writelane_b32 v44, s100, 36
	v_writelane_b32 v44, s101, 37
	s_addk_i32 s32, 0x800
	buffer_store_dword v40, off, s[0:3], s33 offset:12 ; 4-byte Folded Spill
	buffer_store_dword v41, off, s[0:3], s33 offset:8 ; 4-byte Folded Spill
	buffer_store_dword v42, off, s[0:3], s33 offset:4 ; 4-byte Folded Spill
	buffer_store_dword v62, off, s[0:3], s33 ; 4-byte Folded Spill
	v_writelane_b32 v44, s34, 0
	v_writelane_b32 v44, s35, 1
	;; [unrolled: 1-line block ×36, first 2 shown]
	s_trap 2
	ds_read_b32 v0, v0
	v_mov_b32_e32 v40, v31
                                        ; implicit-def: $vgpr43 : SGPR spill to VGPR lane
	v_and_b32_e32 v41, 0x3ff, v40
	v_writelane_b32 v43, s12, 0
	v_writelane_b32 v43, s8, 1
	s_waitcnt lgkmcnt(0)
	v_cmp_lt_i32_e32 vcc, v41, v0
	v_writelane_b32 v43, s9, 2
	s_and_saveexec_b64 s[4:5], vcc
	s_cbranch_execz .LBB7_5
; %bb.1:
	v_readlane_b32 s8, v43, 1
	v_readlane_b32 s9, v43, 2
	s_load_dword s6, s[8:9], 0x0
	v_readlane_b32 s7, v43, 0
	v_mov_b32_e32 v1, 0
	v_mov_b32_e32 v4, v41
                                        ; implicit-def: $vgpr3
	s_waitcnt lgkmcnt(0)
	s_cmp_lt_u32 s7, s6
	s_cselect_b32 s6, 12, 18
	s_add_u32 s6, s8, s6
	s_addc_u32 s7, s9, 0
	global_load_ushort v1, v1, s[6:7]
	s_trap 2
	ds_read_b32 v2, v0
	s_mov_b64 s[6:7], 0
	s_waitcnt vmcnt(0) lgkmcnt(0)
	v_mul_lo_u32 v2, v2, v1
	s_branch .LBB7_3
.LBB7_2:                                ;   in Loop: Header=BB7_3 Depth=1
	s_or_b64 exec, exec, s[8:9]
	v_add_u32_e32 v4, v4, v1
	v_cmp_ge_i32_e32 vcc, v4, v0
	s_or_b64 s[6:7], vcc, s[6:7]
	v_add_u32_e32 v3, v3, v2
	s_andn2_b64 exec, exec, s[6:7]
	s_cbranch_execz .LBB7_5
.LBB7_3:                                ; =>This Inner Loop Header: Depth=1
	ds_read_b32 v5, v3
	s_waitcnt lgkmcnt(0)
	v_and_b32_e32 v5, 0x1000000, v5
	v_cmp_ne_u32_e32 vcc, 0, v5
	s_and_saveexec_b64 s[8:9], vcc
	s_cbranch_execz .LBB7_2
; %bb.4:                                ;   in Loop: Header=BB7_3 Depth=1
	ds_read_b64 v[5:6], v3 offset:104
	s_waitcnt lgkmcnt(0)
	flat_load_dwordx2 v[5:6], v[5:6]
	s_waitcnt vmcnt(0) lgkmcnt(0)
	ds_write_b64 v3, v[5:6] offset:104
	s_branch .LBB7_2
.LBB7_5:
	s_or_b64 exec, exec, s[4:5]
	s_waitcnt vmcnt(0) lgkmcnt(0)
	s_barrier
	s_trap 2
	ds_read_b32 v0, v0
	s_waitcnt lgkmcnt(0)
	v_cmp_gt_i32_e32 vcc, 1, v0
	s_cbranch_vccnz .LBB7_13
; %bb.6:
	s_mov_b32 s6, 0
	v_mov_b32_e32 v42, 6
	s_branch .LBB7_8
.LBB7_7:                                ;   in Loop: Header=BB7_8 Depth=1
	s_or_b64 exec, exec, s[8:9]
	s_trap 2
	ds_read_b32 v0, v0
	s_add_i32 s6, s6, 1
	s_waitcnt lgkmcnt(0)
	v_cmp_lt_i32_e32 vcc, s6, v0
	s_cbranch_vccz .LBB7_13
.LBB7_8:                                ; =>This Inner Loop Header: Depth=1
	s_trap 2
	ds_read_b32 v0, v0
	s_cmp_eq_u32 s6, 0
	s_cbranch_scc1 .LBB7_11
; %bb.9:                                ;   in Loop: Header=BB7_8 Depth=1
	s_trap 2
	s_waitcnt lgkmcnt(0)
	ds_read_b32 v1, v0
	s_waitcnt lgkmcnt(0)
	v_xor_b32_e32 v1, v1, v0
	v_and_b32_e32 v1, 0xff0000, v1
	v_cmp_eq_u32_e32 vcc, 0, v1
	s_cbranch_vccnz .LBB7_11
; %bb.10:                               ;   in Loop: Header=BB7_8 Depth=1
	s_barrier
	ds_read_b32 v0, v0
.LBB7_11:                               ;   in Loop: Header=BB7_8 Depth=1
	s_waitcnt lgkmcnt(0)
	v_lshlrev_b32_sdwa v1, v42, v0 dst_sel:DWORD dst_unused:UNUSED_PAD src0_sel:DWORD src1_sel:BYTE_2
	v_cmp_lt_u32_e32 vcc, v41, v1
	s_and_saveexec_b64 s[8:9], vcc
	s_cbranch_execz .LBB7_7
; %bb.12:                               ;   in Loop: Header=BB7_8 Depth=1
	v_writelane_b32 v43, s6, 3
	v_writelane_b32 v43, s8, 4
	s_mov_b64 s[4:5], src_shared_base
	s_getpc_b64 s[6:7]
	s_add_u32 s6, s6, _ZN12_GLOBAL__N_17runRingIh14FuncSumPostDivIhE11ProtoSimpleILi2ELi2ELi0ELi4ELi0ELi0EELi0ELi0ELi4ELi0EEEviiP15ncclDevWorkColl@rel32@lo+4
	s_addc_u32 s7, s7, _ZN12_GLOBAL__N_17runRingIh14FuncSumPostDivIhE11ProtoSimpleILi2ELi2ELi0ELi4ELi0ELi0EELi0ELi0ELi4ELi0EEEviiP15ncclDevWorkColl@rel32@hi+12
	v_writelane_b32 v43, s9, 5
	s_or_saveexec_b64 s[100:101], -1
	buffer_store_dword v43, off, s[0:3], s33 offset:16 ; 4-byte Folded Spill
	s_mov_b64 exec, s[100:101]
	v_readlane_b32 s8, v43, 1
	v_readlane_b32 s9, v43, 2
	;; [unrolled: 1-line block ×3, first 2 shown]
	v_mov_b32_e32 v31, v40
	v_mov_b32_e32 v0, v41
	v_mov_b32_e32 v3, s5
	s_swappc_b64 s[30:31], s[6:7]
	s_or_saveexec_b64 s[100:101], -1
	buffer_load_dword v43, off, s[0:3], s33 offset:16 ; 4-byte Folded Reload
	s_mov_b64 exec, s[100:101]
	s_waitcnt vmcnt(0)
	v_readlane_b32 s8, v43, 4
	v_readlane_b32 s9, v43, 5
	;; [unrolled: 1-line block ×3, first 2 shown]
	s_branch .LBB7_7
.LBB7_13:
	buffer_load_dword v62, off, s[0:3], s33 ; 4-byte Folded Reload
	buffer_load_dword v42, off, s[0:3], s33 offset:4 ; 4-byte Folded Reload
	buffer_load_dword v41, off, s[0:3], s33 offset:8 ; 4-byte Folded Reload
	;; [unrolled: 1-line block ×3, first 2 shown]
	v_readlane_b32 s30, v44, 34
	v_readlane_b32 s31, v44, 35
	;; [unrolled: 1-line block ×36, first 2 shown]
	s_mov_b32 s32, s33
	v_readlane_b32 s4, v44, 38
	v_readlane_b32 s100, v44, 36
	;; [unrolled: 1-line block ×3, first 2 shown]
	s_or_saveexec_b64 s[6:7], -1
	buffer_load_dword v43, off, s[0:3], s33 offset:20 ; 4-byte Folded Reload
	buffer_load_dword v44, off, s[0:3], s33 offset:24 ; 4-byte Folded Reload
	s_mov_b64 exec, s[6:7]
	s_mov_b32 s33, s4
	s_waitcnt vmcnt(0)
	s_setpc_b64 s[30:31]
.Lfunc_end7:
	.size	_Z53ncclDevFunc_AllReduce_RING_SIMPLE_SumPostDiv_u8_0_0_4v, .Lfunc_end7-_Z53ncclDevFunc_AllReduce_RING_SIMPLE_SumPostDiv_u8_0_0_4v
                                        ; -- End function
	.set .L_Z53ncclDevFunc_AllReduce_RING_SIMPLE_SumPostDiv_u8_0_0_4v.num_vgpr, max(63, .L_ZN12_GLOBAL__N_17runRingIh14FuncSumPostDivIhE11ProtoSimpleILi2ELi2ELi0ELi4ELi0ELi0EELi0ELi0ELi4ELi0EEEviiP15ncclDevWorkColl.num_vgpr)
	.set .L_Z53ncclDevFunc_AllReduce_RING_SIMPLE_SumPostDiv_u8_0_0_4v.num_agpr, max(0, .L_ZN12_GLOBAL__N_17runRingIh14FuncSumPostDivIhE11ProtoSimpleILi2ELi2ELi0ELi4ELi0ELi0EELi0ELi0ELi4ELi0EEEviiP15ncclDevWorkColl.num_agpr)
	.set .L_Z53ncclDevFunc_AllReduce_RING_SIMPLE_SumPostDiv_u8_0_0_4v.numbered_sgpr, max(102, .L_ZN12_GLOBAL__N_17runRingIh14FuncSumPostDivIhE11ProtoSimpleILi2ELi2ELi0ELi4ELi0ELi0EELi0ELi0ELi4ELi0EEEviiP15ncclDevWorkColl.numbered_sgpr)
	.set .L_Z53ncclDevFunc_AllReduce_RING_SIMPLE_SumPostDiv_u8_0_0_4v.num_named_barrier, max(0, .L_ZN12_GLOBAL__N_17runRingIh14FuncSumPostDivIhE11ProtoSimpleILi2ELi2ELi0ELi4ELi0ELi0EELi0ELi0ELi4ELi0EEEviiP15ncclDevWorkColl.num_named_barrier)
	.set .L_Z53ncclDevFunc_AllReduce_RING_SIMPLE_SumPostDiv_u8_0_0_4v.private_seg_size, 32+max(.L_ZN12_GLOBAL__N_17runRingIh14FuncSumPostDivIhE11ProtoSimpleILi2ELi2ELi0ELi4ELi0ELi0EELi0ELi0ELi4ELi0EEEviiP15ncclDevWorkColl.private_seg_size)
	.set .L_Z53ncclDevFunc_AllReduce_RING_SIMPLE_SumPostDiv_u8_0_0_4v.uses_vcc, or(1, .L_ZN12_GLOBAL__N_17runRingIh14FuncSumPostDivIhE11ProtoSimpleILi2ELi2ELi0ELi4ELi0ELi0EELi0ELi0ELi4ELi0EEEviiP15ncclDevWorkColl.uses_vcc)
	.set .L_Z53ncclDevFunc_AllReduce_RING_SIMPLE_SumPostDiv_u8_0_0_4v.uses_flat_scratch, or(0, .L_ZN12_GLOBAL__N_17runRingIh14FuncSumPostDivIhE11ProtoSimpleILi2ELi2ELi0ELi4ELi0ELi0EELi0ELi0ELi4ELi0EEEviiP15ncclDevWorkColl.uses_flat_scratch)
	.set .L_Z53ncclDevFunc_AllReduce_RING_SIMPLE_SumPostDiv_u8_0_0_4v.has_dyn_sized_stack, or(0, .L_ZN12_GLOBAL__N_17runRingIh14FuncSumPostDivIhE11ProtoSimpleILi2ELi2ELi0ELi4ELi0ELi0EELi0ELi0ELi4ELi0EEEviiP15ncclDevWorkColl.has_dyn_sized_stack)
	.set .L_Z53ncclDevFunc_AllReduce_RING_SIMPLE_SumPostDiv_u8_0_0_4v.has_recursion, or(1, .L_ZN12_GLOBAL__N_17runRingIh14FuncSumPostDivIhE11ProtoSimpleILi2ELi2ELi0ELi4ELi0ELi0EELi0ELi0ELi4ELi0EEEviiP15ncclDevWorkColl.has_recursion)
	.set .L_Z53ncclDevFunc_AllReduce_RING_SIMPLE_SumPostDiv_u8_0_0_4v.has_indirect_call, or(0, .L_ZN12_GLOBAL__N_17runRingIh14FuncSumPostDivIhE11ProtoSimpleILi2ELi2ELi0ELi4ELi0ELi0EELi0ELi0ELi4ELi0EEEviiP15ncclDevWorkColl.has_indirect_call)
	.section	.AMDGPU.csdata,"",@progbits
; Function info:
; codeLenInByte = 1356
; TotalNumSgprs: 106
; NumVgprs: 64
; ScratchSize: 560
; MemoryBound: 0
	.section	.AMDGPU.gpr_maximums,"",@progbits
	.set amdgpu.max_num_vgpr, 64
	.set amdgpu.max_num_agpr, 0
	.set amdgpu.max_num_sgpr, 102
	.section	.AMDGPU.csdata,"",@progbits
	.type	__const.__assert_fail.fmt,@object ; @__const.__assert_fail.fmt
	.section	.rodata.str1.16,"aMS",@progbits,1
	.p2align	4, 0x0
__const.__assert_fail.fmt:
	.asciz	"%s:%u: %s: Device-side assertion `%s' failed.\n"
	.size	__const.__assert_fail.fmt, 47

	.type	.str.3,@object                  ; @.str.3
	.section	.rodata.str1.1,"aMS",@progbits,1
.str.3:
	.asciz	"2*(nrecv+nsend) <= nthreads"
	.size	.str.3, 28

	.type	.str.4,@object                  ; @.str.4
.str.4:
	.asciz	"/root/src/amdgpu-assembly/repos/ROCm__rccl/hipify/src/device/prims_simple.h"
	.size	.str.4, 76

	.type	__PRETTY_FUNCTION__._ZN10PrimitivesIh14FuncSumPostDivIhE12FanSymmetricILi1EELi0E11ProtoSimpleILi2ELi2ELi0ELi1ELi0ELi0EELi0ELb0ELi0ELi0ELi0EEC2EiiPKiS8_PKvPvmhhhP15ncclDevWorkCollP14ncclDevWorkP2pii,@object ; @__PRETTY_FUNCTION__._ZN10PrimitivesIh14FuncSumPostDivIhE12FanSymmetricILi1EELi0E11ProtoSimpleILi2ELi2ELi0ELi1ELi0ELi0EELi0ELb0ELi0ELi0ELi0EEC2EiiPKiS8_PKvPvmhhhP15ncclDevWorkCollP14ncclDevWorkP2pii
__PRETTY_FUNCTION__._ZN10PrimitivesIh14FuncSumPostDivIhE12FanSymmetricILi1EELi0E11ProtoSimpleILi2ELi2ELi0ELi1ELi0ELi0EELi0ELb0ELi0ELi0ELi0EEC2EiiPKiS8_PKvPvmhhhP15ncclDevWorkCollP14ncclDevWorkP2pii:
	.asciz	"Primitives<unsigned char, FuncSumPostDiv<unsigned char>, FanSymmetric<1>, 0, ProtoSimple<2, 2, 0, 1>, 0>::Primitives(int, int, const int *, const int *, const void *, void *, uint64_t, uint8_t, uint8_t, uint8_t, struct ncclDevWorkColl *, struct ncclDevWorkP2p *, int, int) [T = unsigned char, RedOp = FuncSumPostDiv<unsigned char>, Fan = FanSymmetric<1>, Direct = 0, Proto = ProtoSimple<2, 2, 0, 1>, P2p = 0, isNetOffload = false, Metadata = 0, Pipeline = 0, useAcc = 0]"
	.size	__PRETTY_FUNCTION__._ZN10PrimitivesIh14FuncSumPostDivIhE12FanSymmetricILi1EELi0E11ProtoSimpleILi2ELi2ELi0ELi1ELi0ELi0EELi0ELb0ELi0ELi0ELi0EEC2EiiPKiS8_PKvPvmhhhP15ncclDevWorkCollP14ncclDevWorkP2pii, 471

	.type	__PRETTY_FUNCTION__._ZN10PrimitivesIh14FuncSumPostDivIhE12FanSymmetricILi1EELi0E11ProtoSimpleILi2ELi2ELi0ELi2ELi0ELi0EELi0ELb0ELi0ELi0ELi0EEC2EiiPKiS8_PKvPvmhhhP15ncclDevWorkCollP14ncclDevWorkP2pii,@object ; @__PRETTY_FUNCTION__._ZN10PrimitivesIh14FuncSumPostDivIhE12FanSymmetricILi1EELi0E11ProtoSimpleILi2ELi2ELi0ELi2ELi0ELi0EELi0ELb0ELi0ELi0ELi0EEC2EiiPKiS8_PKvPvmhhhP15ncclDevWorkCollP14ncclDevWorkP2pii
__PRETTY_FUNCTION__._ZN10PrimitivesIh14FuncSumPostDivIhE12FanSymmetricILi1EELi0E11ProtoSimpleILi2ELi2ELi0ELi2ELi0ELi0EELi0ELb0ELi0ELi0ELi0EEC2EiiPKiS8_PKvPvmhhhP15ncclDevWorkCollP14ncclDevWorkP2pii:
	.asciz	"Primitives<unsigned char, FuncSumPostDiv<unsigned char>, FanSymmetric<1>, 0, ProtoSimple<2, 2, 0, 2>, 0>::Primitives(int, int, const int *, const int *, const void *, void *, uint64_t, uint8_t, uint8_t, uint8_t, struct ncclDevWorkColl *, struct ncclDevWorkP2p *, int, int) [T = unsigned char, RedOp = FuncSumPostDiv<unsigned char>, Fan = FanSymmetric<1>, Direct = 0, Proto = ProtoSimple<2, 2, 0, 2>, P2p = 0, isNetOffload = false, Metadata = 0, Pipeline = 0, useAcc = 0]"
	.size	__PRETTY_FUNCTION__._ZN10PrimitivesIh14FuncSumPostDivIhE12FanSymmetricILi1EELi0E11ProtoSimpleILi2ELi2ELi0ELi2ELi0ELi0EELi0ELb0ELi0ELi0ELi0EEC2EiiPKiS8_PKvPvmhhhP15ncclDevWorkCollP14ncclDevWorkP2pii, 471

	.type	__PRETTY_FUNCTION__._ZN10PrimitivesIh14FuncSumPostDivIhE12FanSymmetricILi1EELi0E11ProtoSimpleILi2ELi2ELi0ELi4ELi0ELi0EELi0ELb0ELi0ELi0ELi0EEC2EiiPKiS8_PKvPvmhhhP15ncclDevWorkCollP14ncclDevWorkP2pii,@object ; @__PRETTY_FUNCTION__._ZN10PrimitivesIh14FuncSumPostDivIhE12FanSymmetricILi1EELi0E11ProtoSimpleILi2ELi2ELi0ELi4ELi0ELi0EELi0ELb0ELi0ELi0ELi0EEC2EiiPKiS8_PKvPvmhhhP15ncclDevWorkCollP14ncclDevWorkP2pii
__PRETTY_FUNCTION__._ZN10PrimitivesIh14FuncSumPostDivIhE12FanSymmetricILi1EELi0E11ProtoSimpleILi2ELi2ELi0ELi4ELi0ELi0EELi0ELb0ELi0ELi0ELi0EEC2EiiPKiS8_PKvPvmhhhP15ncclDevWorkCollP14ncclDevWorkP2pii:
	.asciz	"Primitives<unsigned char, FuncSumPostDiv<unsigned char>, FanSymmetric<1>, 0, ProtoSimple<2, 2, 0, 4>, 0>::Primitives(int, int, const int *, const int *, const void *, void *, uint64_t, uint8_t, uint8_t, uint8_t, struct ncclDevWorkColl *, struct ncclDevWorkP2p *, int, int) [T = unsigned char, RedOp = FuncSumPostDiv<unsigned char>, Fan = FanSymmetric<1>, Direct = 0, Proto = ProtoSimple<2, 2, 0, 4>, P2p = 0, isNetOffload = false, Metadata = 0, Pipeline = 0, useAcc = 0]"
	.size	__PRETTY_FUNCTION__._ZN10PrimitivesIh14FuncSumPostDivIhE12FanSymmetricILi1EELi0E11ProtoSimpleILi2ELi2ELi0ELi4ELi0ELi0EELi0ELb0ELi0ELi0ELi0EEC2EiiPKiS8_PKvPvmhhhP15ncclDevWorkCollP14ncclDevWorkP2pii, 471

	.type	__hip_cuid_85d50824fa3253ff,@object ; @__hip_cuid_85d50824fa3253ff
	.section	.bss,"aw",@nobits
	.globl	__hip_cuid_85d50824fa3253ff
__hip_cuid_85d50824fa3253ff:
	.byte	0                               ; 0x0
	.size	__hip_cuid_85d50824fa3253ff, 1

	.ident	"AMD clang version 22.0.0git (https://github.com/RadeonOpenCompute/llvm-project roc-7.2.4 26084 f58b06dce1f9c15707c5f808fd002e18c2accf7e)"
	.section	".note.GNU-stack","",@progbits
	.addrsig
	.addrsig_sym _Z53ncclDevFunc_AllReduce_RING_SIMPLE_SumPostDiv_u8_0_0_1v
	.addrsig_sym _Z53ncclDevFunc_AllReduce_RING_SIMPLE_SumPostDiv_u8_0_0_2v
	.addrsig_sym _Z53ncclDevFunc_AllReduce_RING_SIMPLE_SumPostDiv_u8_0_0_4v
	.addrsig_sym ncclShmem
	.addrsig_sym __hip_cuid_85d50824fa3253ff
	.amdgpu_metadata
---
amdhsa.kernels:  []
amdhsa.target:   amdgcn-amd-amdhsa--gfx906
amdhsa.version:
  - 1
  - 2
...

	.end_amdgpu_metadata
